;; amdgpu-corpus repo=ROCm/rocFFT kind=compiled arch=gfx1201 opt=O3
	.text
	.amdgcn_target "amdgcn-amd-amdhsa--gfx1201"
	.amdhsa_code_object_version 6
	.protected	fft_rtc_back_len2700_factors_3_10_10_3_3_wgs_90_tpt_90_halfLds_dp_op_CI_CI_sbrr_dirReg ; -- Begin function fft_rtc_back_len2700_factors_3_10_10_3_3_wgs_90_tpt_90_halfLds_dp_op_CI_CI_sbrr_dirReg
	.globl	fft_rtc_back_len2700_factors_3_10_10_3_3_wgs_90_tpt_90_halfLds_dp_op_CI_CI_sbrr_dirReg
	.p2align	8
	.type	fft_rtc_back_len2700_factors_3_10_10_3_3_wgs_90_tpt_90_halfLds_dp_op_CI_CI_sbrr_dirReg,@function
fft_rtc_back_len2700_factors_3_10_10_3_3_wgs_90_tpt_90_halfLds_dp_op_CI_CI_sbrr_dirReg: ; @fft_rtc_back_len2700_factors_3_10_10_3_3_wgs_90_tpt_90_halfLds_dp_op_CI_CI_sbrr_dirReg
; %bb.0:
	s_clause 0x2
	s_load_b128 s[12:15], s[0:1], 0x18
	s_load_b128 s[8:11], s[0:1], 0x0
	;; [unrolled: 1-line block ×3, first 2 shown]
	v_mul_u32_u24_e32 v1, 0x2d9, v0
	v_mov_b32_e32 v4, 0
	v_mov_b32_e32 v5, 0
	s_wait_kmcnt 0x0
	s_load_b64 s[18:19], s[12:13], 0x0
	s_load_b64 s[16:17], s[14:15], 0x0
	v_lshrrev_b32_e32 v2, 16, v1
	v_mov_b32_e32 v1, 0
	v_cmp_lt_u64_e64 s2, s[10:11], 2
	s_delay_alu instid0(VALU_DEP_2) | instskip(NEXT) | instid1(VALU_DEP_2)
	v_dual_mov_b32 v7, v1 :: v_dual_add_nc_u32 v6, ttmp9, v2
	s_and_b32 vcc_lo, exec_lo, s2
	s_cbranch_vccnz .LBB0_8
; %bb.1:
	s_load_b64 s[2:3], s[0:1], 0x10
	v_mov_b32_e32 v4, 0
	v_mov_b32_e32 v5, 0
	s_add_nc_u64 s[20:21], s[14:15], 8
	s_add_nc_u64 s[22:23], s[12:13], 8
	s_mov_b64 s[24:25], 1
	s_delay_alu instid0(VALU_DEP_1)
	v_dual_mov_b32 v161, v5 :: v_dual_mov_b32 v160, v4
	s_wait_kmcnt 0x0
	s_add_nc_u64 s[26:27], s[2:3], 8
	s_mov_b32 s3, 0
.LBB0_2:                                ; =>This Inner Loop Header: Depth=1
	s_load_b64 s[28:29], s[26:27], 0x0
                                        ; implicit-def: $vgpr120_vgpr121
	s_mov_b32 s2, exec_lo
	s_wait_kmcnt 0x0
	v_or_b32_e32 v2, s29, v7
	s_delay_alu instid0(VALU_DEP_1)
	v_cmpx_ne_u64_e32 0, v[1:2]
	s_wait_alu 0xfffe
	s_xor_b32 s30, exec_lo, s2
	s_cbranch_execz .LBB0_4
; %bb.3:                                ;   in Loop: Header=BB0_2 Depth=1
	s_cvt_f32_u32 s2, s28
	s_cvt_f32_u32 s31, s29
	s_sub_nc_u64 s[36:37], 0, s[28:29]
	s_wait_alu 0xfffe
	s_delay_alu instid0(SALU_CYCLE_1) | instskip(SKIP_1) | instid1(SALU_CYCLE_2)
	s_fmamk_f32 s2, s31, 0x4f800000, s2
	s_wait_alu 0xfffe
	v_s_rcp_f32 s2, s2
	s_delay_alu instid0(TRANS32_DEP_1) | instskip(SKIP_1) | instid1(SALU_CYCLE_2)
	s_mul_f32 s2, s2, 0x5f7ffffc
	s_wait_alu 0xfffe
	s_mul_f32 s31, s2, 0x2f800000
	s_wait_alu 0xfffe
	s_delay_alu instid0(SALU_CYCLE_2) | instskip(SKIP_1) | instid1(SALU_CYCLE_2)
	s_trunc_f32 s31, s31
	s_wait_alu 0xfffe
	s_fmamk_f32 s2, s31, 0xcf800000, s2
	s_cvt_u32_f32 s35, s31
	s_wait_alu 0xfffe
	s_delay_alu instid0(SALU_CYCLE_1) | instskip(SKIP_1) | instid1(SALU_CYCLE_2)
	s_cvt_u32_f32 s34, s2
	s_wait_alu 0xfffe
	s_mul_u64 s[38:39], s[36:37], s[34:35]
	s_wait_alu 0xfffe
	s_mul_hi_u32 s41, s34, s39
	s_mul_i32 s40, s34, s39
	s_mul_hi_u32 s2, s34, s38
	s_mul_i32 s33, s35, s38
	s_wait_alu 0xfffe
	s_add_nc_u64 s[40:41], s[2:3], s[40:41]
	s_mul_hi_u32 s31, s35, s38
	s_mul_hi_u32 s42, s35, s39
	s_add_co_u32 s2, s40, s33
	s_wait_alu 0xfffe
	s_add_co_ci_u32 s2, s41, s31
	s_mul_i32 s38, s35, s39
	s_add_co_ci_u32 s39, s42, 0
	s_wait_alu 0xfffe
	s_add_nc_u64 s[38:39], s[2:3], s[38:39]
	s_wait_alu 0xfffe
	v_add_co_u32 v2, s2, s34, s38
	s_delay_alu instid0(VALU_DEP_1) | instskip(SKIP_1) | instid1(VALU_DEP_1)
	s_cmp_lg_u32 s2, 0
	s_add_co_ci_u32 s35, s35, s39
	v_readfirstlane_b32 s34, v2
	s_wait_alu 0xfffe
	s_delay_alu instid0(VALU_DEP_1)
	s_mul_u64 s[36:37], s[36:37], s[34:35]
	s_wait_alu 0xfffe
	s_mul_hi_u32 s39, s34, s37
	s_mul_i32 s38, s34, s37
	s_mul_hi_u32 s2, s34, s36
	s_mul_i32 s33, s35, s36
	s_wait_alu 0xfffe
	s_add_nc_u64 s[38:39], s[2:3], s[38:39]
	s_mul_hi_u32 s31, s35, s36
	s_mul_hi_u32 s34, s35, s37
	s_wait_alu 0xfffe
	s_add_co_u32 s2, s38, s33
	s_add_co_ci_u32 s2, s39, s31
	s_mul_i32 s36, s35, s37
	s_add_co_ci_u32 s37, s34, 0
	s_wait_alu 0xfffe
	s_add_nc_u64 s[36:37], s[2:3], s[36:37]
	s_wait_alu 0xfffe
	v_add_co_u32 v8, s2, v2, s36
	s_delay_alu instid0(VALU_DEP_1) | instskip(SKIP_1) | instid1(VALU_DEP_1)
	s_cmp_lg_u32 s2, 0
	s_add_co_ci_u32 s2, s35, s37
	v_mul_hi_u32 v12, v6, v8
	s_wait_alu 0xfffe
	v_mad_co_u64_u32 v[2:3], null, v6, s2, 0
	v_mad_co_u64_u32 v[8:9], null, v7, v8, 0
	;; [unrolled: 1-line block ×3, first 2 shown]
	s_delay_alu instid0(VALU_DEP_3) | instskip(SKIP_1) | instid1(VALU_DEP_4)
	v_add_co_u32 v2, vcc_lo, v12, v2
	s_wait_alu 0xfffd
	v_add_co_ci_u32_e32 v3, vcc_lo, 0, v3, vcc_lo
	s_delay_alu instid0(VALU_DEP_2) | instskip(SKIP_1) | instid1(VALU_DEP_2)
	v_add_co_u32 v2, vcc_lo, v2, v8
	s_wait_alu 0xfffd
	v_add_co_ci_u32_e32 v2, vcc_lo, v3, v9, vcc_lo
	s_wait_alu 0xfffd
	v_add_co_ci_u32_e32 v3, vcc_lo, 0, v11, vcc_lo
	s_delay_alu instid0(VALU_DEP_2) | instskip(SKIP_1) | instid1(VALU_DEP_2)
	v_add_co_u32 v8, vcc_lo, v2, v10
	s_wait_alu 0xfffd
	v_add_co_ci_u32_e32 v9, vcc_lo, 0, v3, vcc_lo
	s_delay_alu instid0(VALU_DEP_2) | instskip(SKIP_1) | instid1(VALU_DEP_3)
	v_mul_lo_u32 v10, s29, v8
	v_mad_co_u64_u32 v[2:3], null, s28, v8, 0
	v_mul_lo_u32 v11, s28, v9
	s_delay_alu instid0(VALU_DEP_2) | instskip(NEXT) | instid1(VALU_DEP_2)
	v_sub_co_u32 v2, vcc_lo, v6, v2
	v_add3_u32 v3, v3, v11, v10
	s_delay_alu instid0(VALU_DEP_1) | instskip(SKIP_1) | instid1(VALU_DEP_1)
	v_sub_nc_u32_e32 v10, v7, v3
	s_wait_alu 0xfffd
	v_subrev_co_ci_u32_e64 v10, s2, s29, v10, vcc_lo
	v_add_co_u32 v11, s2, v8, 2
	s_wait_alu 0xf1ff
	v_add_co_ci_u32_e64 v12, s2, 0, v9, s2
	v_sub_co_u32 v13, s2, v2, s28
	v_sub_co_ci_u32_e32 v3, vcc_lo, v7, v3, vcc_lo
	s_wait_alu 0xf1ff
	v_subrev_co_ci_u32_e64 v10, s2, 0, v10, s2
	s_delay_alu instid0(VALU_DEP_3) | instskip(NEXT) | instid1(VALU_DEP_3)
	v_cmp_le_u32_e32 vcc_lo, s28, v13
	v_cmp_eq_u32_e64 s2, s29, v3
	s_wait_alu 0xfffd
	v_cndmask_b32_e64 v13, 0, -1, vcc_lo
	v_cmp_le_u32_e32 vcc_lo, s29, v10
	s_wait_alu 0xfffd
	v_cndmask_b32_e64 v14, 0, -1, vcc_lo
	v_cmp_le_u32_e32 vcc_lo, s28, v2
	;; [unrolled: 3-line block ×3, first 2 shown]
	s_wait_alu 0xfffd
	v_cndmask_b32_e64 v15, 0, -1, vcc_lo
	v_cmp_eq_u32_e32 vcc_lo, s29, v10
	s_wait_alu 0xf1ff
	s_delay_alu instid0(VALU_DEP_2)
	v_cndmask_b32_e64 v2, v15, v2, s2
	s_wait_alu 0xfffd
	v_cndmask_b32_e32 v10, v14, v13, vcc_lo
	v_add_co_u32 v13, vcc_lo, v8, 1
	s_wait_alu 0xfffd
	v_add_co_ci_u32_e32 v14, vcc_lo, 0, v9, vcc_lo
	s_delay_alu instid0(VALU_DEP_3) | instskip(SKIP_1) | instid1(VALU_DEP_2)
	v_cmp_ne_u32_e32 vcc_lo, 0, v10
	s_wait_alu 0xfffd
	v_dual_cndmask_b32 v3, v14, v12 :: v_dual_cndmask_b32 v10, v13, v11
	v_cmp_ne_u32_e32 vcc_lo, 0, v2
	s_wait_alu 0xfffd
	s_delay_alu instid0(VALU_DEP_2)
	v_dual_cndmask_b32 v121, v9, v3 :: v_dual_cndmask_b32 v120, v8, v10
.LBB0_4:                                ;   in Loop: Header=BB0_2 Depth=1
	s_wait_alu 0xfffe
	s_and_not1_saveexec_b32 s2, s30
	s_cbranch_execz .LBB0_6
; %bb.5:                                ;   in Loop: Header=BB0_2 Depth=1
	v_cvt_f32_u32_e32 v2, s28
	s_sub_co_i32 s30, 0, s28
	v_mov_b32_e32 v121, v1
	s_delay_alu instid0(VALU_DEP_2) | instskip(NEXT) | instid1(TRANS32_DEP_1)
	v_rcp_iflag_f32_e32 v2, v2
	v_mul_f32_e32 v2, 0x4f7ffffe, v2
	s_delay_alu instid0(VALU_DEP_1) | instskip(SKIP_1) | instid1(VALU_DEP_1)
	v_cvt_u32_f32_e32 v2, v2
	s_wait_alu 0xfffe
	v_mul_lo_u32 v3, s30, v2
	s_delay_alu instid0(VALU_DEP_1) | instskip(NEXT) | instid1(VALU_DEP_1)
	v_mul_hi_u32 v3, v2, v3
	v_add_nc_u32_e32 v2, v2, v3
	s_delay_alu instid0(VALU_DEP_1) | instskip(NEXT) | instid1(VALU_DEP_1)
	v_mul_hi_u32 v2, v6, v2
	v_mul_lo_u32 v3, v2, s28
	v_add_nc_u32_e32 v8, 1, v2
	s_delay_alu instid0(VALU_DEP_2) | instskip(NEXT) | instid1(VALU_DEP_1)
	v_sub_nc_u32_e32 v3, v6, v3
	v_subrev_nc_u32_e32 v9, s28, v3
	v_cmp_le_u32_e32 vcc_lo, s28, v3
	s_wait_alu 0xfffd
	s_delay_alu instid0(VALU_DEP_2) | instskip(NEXT) | instid1(VALU_DEP_1)
	v_dual_cndmask_b32 v3, v3, v9 :: v_dual_cndmask_b32 v2, v2, v8
	v_cmp_le_u32_e32 vcc_lo, s28, v3
	s_delay_alu instid0(VALU_DEP_2) | instskip(SKIP_1) | instid1(VALU_DEP_1)
	v_add_nc_u32_e32 v8, 1, v2
	s_wait_alu 0xfffd
	v_cndmask_b32_e32 v120, v2, v8, vcc_lo
.LBB0_6:                                ;   in Loop: Header=BB0_2 Depth=1
	s_wait_alu 0xfffe
	s_or_b32 exec_lo, exec_lo, s2
	v_mul_lo_u32 v8, v121, s28
	s_delay_alu instid0(VALU_DEP_2)
	v_mul_lo_u32 v9, v120, s29
	s_load_b64 s[30:31], s[22:23], 0x0
	v_mad_co_u64_u32 v[2:3], null, v120, s28, 0
	s_load_b64 s[28:29], s[20:21], 0x0
	s_add_nc_u64 s[24:25], s[24:25], 1
	s_add_nc_u64 s[20:21], s[20:21], 8
	s_wait_alu 0xfffe
	v_cmp_ge_u64_e64 s2, s[24:25], s[10:11]
	s_add_nc_u64 s[22:23], s[22:23], 8
	s_add_nc_u64 s[26:27], s[26:27], 8
	v_add3_u32 v3, v3, v9, v8
	v_sub_co_u32 v2, vcc_lo, v6, v2
	s_wait_alu 0xfffd
	s_delay_alu instid0(VALU_DEP_2) | instskip(SKIP_2) | instid1(VALU_DEP_1)
	v_sub_co_ci_u32_e32 v3, vcc_lo, v7, v3, vcc_lo
	s_and_b32 vcc_lo, exec_lo, s2
	s_wait_kmcnt 0x0
	v_mul_lo_u32 v6, s30, v3
	v_mul_lo_u32 v7, s31, v2
	v_mad_co_u64_u32 v[4:5], null, s30, v2, v[4:5]
	v_mul_lo_u32 v3, s28, v3
	v_mul_lo_u32 v8, s29, v2
	v_mad_co_u64_u32 v[160:161], null, s28, v2, v[160:161]
	s_delay_alu instid0(VALU_DEP_4) | instskip(NEXT) | instid1(VALU_DEP_2)
	v_add3_u32 v5, v7, v5, v6
	v_add3_u32 v161, v8, v161, v3
	s_wait_alu 0xfffe
	s_cbranch_vccnz .LBB0_9
; %bb.7:                                ;   in Loop: Header=BB0_2 Depth=1
	v_dual_mov_b32 v6, v120 :: v_dual_mov_b32 v7, v121
	s_branch .LBB0_2
.LBB0_8:
	v_dual_mov_b32 v161, v5 :: v_dual_mov_b32 v160, v4
	s_delay_alu instid0(VALU_DEP_2)
	v_dual_mov_b32 v121, v7 :: v_dual_mov_b32 v120, v6
.LBB0_9:
	s_load_b64 s[0:1], s[0:1], 0x28
	v_mul_hi_u32 v1, 0x2d82d83, v0
	s_lshl_b64 s[2:3], s[10:11], 3
                                        ; implicit-def: $vgpr196
                                        ; implicit-def: $vgpr217
                                        ; implicit-def: $vgpr218
                                        ; implicit-def: $vgpr190
                                        ; implicit-def: $vgpr191
                                        ; implicit-def: $vgpr192
                                        ; implicit-def: $vgpr193
                                        ; implicit-def: $vgpr194
                                        ; implicit-def: $vgpr195
                                        ; implicit-def: $vgpr197
	s_wait_kmcnt 0x0
	v_cmp_gt_u64_e32 vcc_lo, s[0:1], v[120:121]
	v_cmp_le_u64_e64 s0, s[0:1], v[120:121]
	s_delay_alu instid0(VALU_DEP_1)
	s_and_saveexec_b32 s1, s0
	s_wait_alu 0xfffe
	s_xor_b32 s0, exec_lo, s1
; %bb.10:
	v_mul_u32_u24_e32 v1, 0x5a, v1
                                        ; implicit-def: $vgpr4_vgpr5
	s_delay_alu instid0(VALU_DEP_1) | instskip(NEXT) | instid1(VALU_DEP_1)
	v_sub_nc_u32_e32 v196, v0, v1
                                        ; implicit-def: $vgpr1
                                        ; implicit-def: $vgpr0
	v_add_nc_u32_e32 v217, 0x5a, v196
	v_add_nc_u32_e32 v218, 0xb4, v196
	;; [unrolled: 1-line block ×9, first 2 shown]
; %bb.11:
	s_wait_alu 0xfffe
	s_or_saveexec_b32 s1, s0
	s_add_nc_u64 s[10:11], s[14:15], s[2:3]
                                        ; implicit-def: $vgpr22_vgpr23
                                        ; implicit-def: $vgpr18_vgpr19
                                        ; implicit-def: $vgpr26_vgpr27
                                        ; implicit-def: $vgpr34_vgpr35
                                        ; implicit-def: $vgpr38_vgpr39
                                        ; implicit-def: $vgpr30_vgpr31
                                        ; implicit-def: $vgpr46_vgpr47
                                        ; implicit-def: $vgpr42_vgpr43
                                        ; implicit-def: $vgpr50_vgpr51
                                        ; implicit-def: $vgpr58_vgpr59
                                        ; implicit-def: $vgpr54_vgpr55
                                        ; implicit-def: $vgpr62_vgpr63
                                        ; implicit-def: $vgpr70_vgpr71
                                        ; implicit-def: $vgpr66_vgpr67
                                        ; implicit-def: $vgpr74_vgpr75
                                        ; implicit-def: $vgpr82_vgpr83
                                        ; implicit-def: $vgpr78_vgpr79
                                        ; implicit-def: $vgpr86_vgpr87
                                        ; implicit-def: $vgpr98_vgpr99
                                        ; implicit-def: $vgpr94_vgpr95
                                        ; implicit-def: $vgpr102_vgpr103
                                        ; implicit-def: $vgpr110_vgpr111
                                        ; implicit-def: $vgpr106_vgpr107
                                        ; implicit-def: $vgpr90_vgpr91
                                        ; implicit-def: $vgpr114_vgpr115
                                        ; implicit-def: $vgpr118_vgpr119
                                        ; implicit-def: $vgpr2_vgpr3
                                        ; implicit-def: $vgpr10_vgpr11
                                        ; implicit-def: $vgpr14_vgpr15
                                        ; implicit-def: $vgpr6_vgpr7
	s_wait_alu 0xfffe
	s_xor_b32 exec_lo, exec_lo, s1
	s_cbranch_execz .LBB0_13
; %bb.12:
	s_add_nc_u64 s[2:3], s[12:13], s[2:3]
	v_mul_u32_u24_e32 v1, 0x5a, v1
	s_load_b64 s[2:3], s[2:3], 0x0
	s_delay_alu instid0(VALU_DEP_1) | instskip(SKIP_1) | instid1(VALU_DEP_2)
	v_sub_nc_u32_e32 v196, v0, v1
	v_lshlrev_b64_e32 v[0:1], 4, v[4:5]
	v_add_nc_u32_e32 v18, 0x3de, v196
	v_add_nc_u32_e32 v14, 0x384, v196
	v_mad_co_u64_u32 v[2:3], null, s18, v196, 0
	v_add_nc_u32_e32 v217, 0x5a, v196
	s_delay_alu instid0(VALU_DEP_4) | instskip(SKIP_2) | instid1(VALU_DEP_4)
	v_mad_co_u64_u32 v[16:17], null, s18, v18, 0
	v_add_nc_u32_e32 v15, 0x708, v196
	v_mad_co_u64_u32 v[4:5], null, s18, v14, 0
	v_mad_co_u64_u32 v[10:11], null, s18, v217, 0
	s_wait_kmcnt 0x0
	v_mul_lo_u32 v19, s3, v120
	v_mul_lo_u32 v20, s2, v121
	v_mad_co_u64_u32 v[8:9], null, s2, v120, 0
	v_mad_co_u64_u32 v[6:7], null, s18, v15, 0
	;; [unrolled: 1-line block ×3, first 2 shown]
	v_dual_mov_b32 v3, v5 :: v_dual_add_nc_u32 v218, 0xb4, v196
	s_delay_alu instid0(VALU_DEP_4)
	v_add3_u32 v9, v9, v20, v19
	v_add_nc_u32_e32 v191, 0x168, v196
	v_mov_b32_e32 v5, v7
	v_mov_b32_e32 v7, v11
	v_mad_co_u64_u32 v[13:14], null, s19, v14, v[3:4]
	v_lshlrev_b64_e32 v[8:9], 4, v[8:9]
	v_mov_b32_e32 v3, v12
	v_mad_co_u64_u32 v[11:12], null, s19, v15, v[5:6]
	v_add_nc_u32_e32 v12, 0x762, v196
	v_mad_co_u64_u32 v[22:23], null, s18, v218, 0
	v_mad_co_u64_u32 v[14:15], null, s19, v217, v[7:8]
	v_add_co_u32 v7, s0, s4, v8
	s_wait_alu 0xf1ff
	v_add_co_ci_u32_e64 v8, s0, s5, v9, s0
	v_dual_mov_b32 v5, v13 :: v_dual_add_nc_u32 v30, 0x438, v196
	s_delay_alu instid0(VALU_DEP_3)
	v_add_co_u32 v26, s0, v7, v0
	v_mov_b32_e32 v7, v11
	s_wait_alu 0xf1ff
	v_add_co_ci_u32_e64 v27, s0, v8, v1, s0
	v_lshlrev_b64_e32 v[0:1], 4, v[4:5]
	v_dual_mov_b32 v11, v14 :: v_dual_add_nc_u32 v32, 0x7bc, v196
	v_lshlrev_b64_e32 v[5:6], 4, v[6:7]
	v_mov_b32_e32 v4, v17
	v_lshlrev_b64_e32 v[2:3], 4, v[2:3]
	s_delay_alu instid0(VALU_DEP_4) | instskip(SKIP_1) | instid1(VALU_DEP_4)
	v_lshlrev_b64_e32 v[7:8], 4, v[10:11]
	v_mad_co_u64_u32 v[28:29], null, s18, v32, 0
	v_mad_co_u64_u32 v[9:10], null, s19, v18, v[4:5]
	;; [unrolled: 1-line block ×3, first 2 shown]
	v_add_co_u32 v2, s0, v26, v2
	s_wait_alu 0xf1ff
	v_add_co_ci_u32_e64 v3, s0, v27, v3, s0
	v_add_co_u32 v0, s0, v26, v0
	s_delay_alu instid0(VALU_DEP_4)
	v_mov_b32_e32 v4, v19
	s_wait_alu 0xf1ff
	v_add_co_ci_u32_e64 v1, s0, v27, v1, s0
	v_add_co_u32 v10, s0, v26, v5
	s_wait_alu 0xf1ff
	v_add_co_ci_u32_e64 v11, s0, v27, v6, s0
	v_add_co_u32 v20, s0, v26, v7
	v_mad_co_u64_u32 v[24:25], null, s19, v12, v[4:5]
	s_wait_alu 0xf1ff
	v_add_co_ci_u32_e64 v21, s0, v27, v8, s0
	v_dual_mov_b32 v17, v9 :: v_dual_add_nc_u32 v190, 0x10e, v196
	s_clause 0x3
	global_load_b128 v[4:7], v[2:3], off
	global_load_b128 v[12:15], v[0:1], off
	;; [unrolled: 1-line block ×4, first 2 shown]
	v_dual_mov_b32 v20, v23 :: v_dual_mov_b32 v19, v24
	v_add_nc_u32_e32 v36, 0x492, v196
	v_mad_co_u64_u32 v[24:25], null, s18, v30, 0
	s_delay_alu instid0(VALU_DEP_3) | instskip(SKIP_4) | instid1(VALU_DEP_4)
	v_mad_co_u64_u32 v[20:21], null, s19, v218, v[20:21]
	v_add_nc_u32_e32 v38, 0x816, v196
	v_lshlrev_b64_e32 v[16:17], 4, v[16:17]
	v_lshlrev_b64_e32 v[18:19], 4, v[18:19]
	v_dual_mov_b32 v21, v25 :: v_dual_add_nc_u32 v42, 0x4ec, v196
	v_mad_co_u64_u32 v[34:35], null, s18, v38, 0
	v_mov_b32_e32 v23, v20
	v_add_co_u32 v16, s0, v26, v16
	s_delay_alu instid0(VALU_DEP_4) | instskip(NEXT) | instid1(VALU_DEP_3)
	v_mad_co_u64_u32 v[20:21], null, s19, v30, v[21:22]
	v_lshlrev_b64_e32 v[21:22], 4, v[22:23]
	v_mov_b32_e32 v23, v29
	v_mad_co_u64_u32 v[30:31], null, s18, v190, 0
	s_wait_alu 0xf1ff
	v_add_co_ci_u32_e64 v17, s0, v27, v17, s0
	s_delay_alu instid0(VALU_DEP_3)
	v_mad_co_u64_u32 v[32:33], null, s19, v32, v[23:24]
	v_add_co_u32 v18, s0, v26, v18
	v_mov_b32_e32 v25, v20
	s_wait_alu 0xf1ff
	v_add_co_ci_u32_e64 v19, s0, v27, v19, s0
	v_add_co_u32 v20, s0, v26, v21
	v_dual_mov_b32 v29, v32 :: v_dual_add_nc_u32 v44, 0x870, v196
	v_mad_co_u64_u32 v[32:33], null, s18, v36, 0
	s_wait_alu 0xf1ff
	v_add_co_ci_u32_e64 v21, s0, v27, v22, s0
	v_lshlrev_b64_e32 v[22:23], 4, v[24:25]
	v_mov_b32_e32 v24, v31
	v_lshlrev_b64_e32 v[28:29], 4, v[28:29]
	v_add_nc_u32_e32 v192, 0x1c2, v196
	v_add_nc_u32_e32 v48, 0x546, v196
	;; [unrolled: 1-line block ×3, first 2 shown]
	v_mad_co_u64_u32 v[24:25], null, s19, v190, v[24:25]
	v_mov_b32_e32 v25, v33
	v_add_co_u32 v22, s0, v26, v22
	s_wait_alu 0xf1ff
	v_add_co_ci_u32_e64 v23, s0, v27, v23, s0
	s_delay_alu instid0(VALU_DEP_3) | instskip(SKIP_4) | instid1(VALU_DEP_3)
	v_mad_co_u64_u32 v[36:37], null, s19, v36, v[25:26]
	v_mov_b32_e32 v31, v24
	v_add_co_u32 v24, s0, v26, v28
	s_wait_alu 0xf1ff
	v_add_co_ci_u32_e64 v25, s0, v27, v29, s0
	v_lshlrev_b64_e32 v[28:29], 4, v[30:31]
	v_mov_b32_e32 v33, v36
	v_mad_co_u64_u32 v[36:37], null, s18, v191, 0
	v_mov_b32_e32 v30, v35
	v_mad_co_u64_u32 v[46:47], null, s18, v50, 0
	v_add_co_u32 v28, s0, v26, v28
	s_delay_alu instid0(VALU_DEP_3)
	v_mad_co_u64_u32 v[30:31], null, s19, v38, v[30:31]
	v_lshlrev_b64_e32 v[31:32], 4, v[32:33]
	v_mov_b32_e32 v33, v37
	v_mad_co_u64_u32 v[38:39], null, s18, v42, 0
	s_wait_alu 0xf1ff
	v_add_co_ci_u32_e64 v29, s0, v27, v29, s0
	s_delay_alu instid0(VALU_DEP_3) | instskip(SKIP_4) | instid1(VALU_DEP_3)
	v_mad_co_u64_u32 v[40:41], null, s19, v191, v[33:34]
	v_mov_b32_e32 v35, v30
	v_add_co_u32 v30, s0, v26, v31
	s_wait_alu 0xf1ff
	v_add_co_ci_u32_e64 v31, s0, v27, v32, s0
	v_lshlrev_b64_e32 v[32:33], 4, v[34:35]
	v_dual_mov_b32 v37, v40 :: v_dual_add_nc_u32 v54, 0x5a0, v196
	v_mad_co_u64_u32 v[40:41], null, s18, v44, 0
	v_mov_b32_e32 v34, v39
	v_add_nc_u32_e32 v56, 0x924, v196
	v_add_co_u32 v32, s0, v26, v32
	s_wait_alu 0xf1ff
	v_add_co_ci_u32_e64 v33, s0, v27, v33, s0
	v_mad_co_u64_u32 v[34:35], null, s19, v42, v[34:35]
	v_lshlrev_b64_e32 v[35:36], 4, v[36:37]
	v_mov_b32_e32 v37, v41
	v_mad_co_u64_u32 v[42:43], null, s18, v192, 0
	v_add_nc_u32_e32 v194, 0x276, v196
	v_add_nc_u32_e32 v60, 0x5fa, v196
	s_delay_alu instid0(VALU_DEP_4) | instskip(SKIP_4) | instid1(VALU_DEP_3)
	v_mad_co_u64_u32 v[44:45], null, s19, v44, v[37:38]
	v_mov_b32_e32 v39, v34
	v_add_co_u32 v34, s0, v26, v35
	s_wait_alu 0xf1ff
	v_add_co_ci_u32_e64 v35, s0, v27, v36, s0
	v_lshlrev_b64_e32 v[36:37], 4, v[38:39]
	v_mov_b32_e32 v41, v44
	v_mad_co_u64_u32 v[44:45], null, s18, v48, 0
	v_mov_b32_e32 v38, v43
	v_add_nc_u32_e32 v62, 0x97e, v196
	v_add_co_u32 v36, s0, v26, v36
	s_wait_alu 0xf1ff
	v_add_co_ci_u32_e64 v37, s0, v27, v37, s0
	v_mad_co_u64_u32 v[38:39], null, s19, v192, v[38:39]
	v_lshlrev_b64_e32 v[39:40], 4, v[40:41]
	v_mov_b32_e32 v41, v45
	v_mad_co_u64_u32 v[58:59], null, s18, v62, 0
	v_add_nc_u32_e32 v193, 0x21c, v196
	v_add_nc_u32_e32 v64, 0x654, v196
	s_delay_alu instid0(VALU_DEP_4) | instskip(SKIP_4) | instid1(VALU_DEP_3)
	v_mad_co_u64_u32 v[48:49], null, s19, v48, v[41:42]
	v_mov_b32_e32 v43, v38
	v_add_co_u32 v38, s0, v26, v39
	s_wait_alu 0xf1ff
	v_add_co_ci_u32_e64 v39, s0, v27, v40, s0
	v_lshlrev_b64_e32 v[40:41], 4, v[42:43]
	v_mov_b32_e32 v45, v48
	v_mad_co_u64_u32 v[48:49], null, s18, v193, 0
	v_mov_b32_e32 v42, v47
	v_add_nc_u32_e32 v66, 0xa32, v196
	v_add_co_u32 v40, s0, v26, v40
	s_wait_alu 0xf1ff
	v_add_co_ci_u32_e64 v41, s0, v27, v41, s0
	v_mad_co_u64_u32 v[42:43], null, s19, v50, v[42:43]
	v_lshlrev_b64_e32 v[43:44], 4, v[44:45]
	v_mov_b32_e32 v45, v49
	v_mad_co_u64_u32 v[50:51], null, s18, v54, 0
	v_add_nc_u32_e32 v195, 0x2d0, v196
	v_add_nc_u32_e32 v65, 0x9d8, v196
	s_delay_alu instid0(VALU_DEP_4) | instskip(SKIP_4) | instid1(VALU_DEP_3)
	v_mad_co_u64_u32 v[52:53], null, s19, v193, v[45:46]
	v_mov_b32_e32 v47, v42
	v_add_co_u32 v42, s0, v26, v43
	s_wait_alu 0xf1ff
	v_add_co_ci_u32_e64 v43, s0, v27, v44, s0
	v_lshlrev_b64_e32 v[44:45], 4, v[46:47]
	v_mov_b32_e32 v49, v52
	v_mad_co_u64_u32 v[52:53], null, s18, v56, 0
	v_dual_mov_b32 v46, v51 :: v_dual_add_nc_u32 v197, 0x32a, v196
	s_delay_alu instid0(VALU_DEP_4) | instskip(SKIP_2) | instid1(VALU_DEP_3)
	v_add_co_u32 v44, s0, v26, v44
	s_wait_alu 0xf1ff
	v_add_co_ci_u32_e64 v45, s0, v27, v45, s0
	v_mad_co_u64_u32 v[46:47], null, s19, v54, v[46:47]
	v_lshlrev_b64_e32 v[47:48], 4, v[48:49]
	v_mov_b32_e32 v49, v53
	v_mad_co_u64_u32 v[54:55], null, s18, v194, 0
	s_clause 0x3
	global_load_b128 v[116:119], v[16:17], off
	global_load_b128 v[112:115], v[18:19], off
	;; [unrolled: 1-line block ×4, first 2 shown]
	v_mad_co_u64_u32 v[56:57], null, s19, v56, v[49:50]
	v_mov_b32_e32 v51, v46
	v_add_co_u32 v46, s0, v26, v47
	s_wait_alu 0xf1ff
	v_add_co_ci_u32_e64 v47, s0, v27, v48, s0
	s_delay_alu instid0(VALU_DEP_3) | instskip(SKIP_2) | instid1(VALU_DEP_2)
	v_lshlrev_b64_e32 v[48:49], 4, v[50:51]
	v_dual_mov_b32 v50, v55 :: v_dual_mov_b32 v53, v56
	v_mad_co_u64_u32 v[56:57], null, s18, v60, 0
	v_mad_co_u64_u32 v[50:51], null, s19, v194, v[50:51]
	s_delay_alu instid0(VALU_DEP_3) | instskip(SKIP_1) | instid1(VALU_DEP_4)
	v_lshlrev_b64_e32 v[51:52], 4, v[52:53]
	v_add_co_u32 v48, s0, v26, v48
	v_mov_b32_e32 v53, v57
	s_wait_alu 0xf1ff
	v_add_co_ci_u32_e64 v49, s0, v27, v49, s0
	v_mov_b32_e32 v55, v50
	v_add_co_u32 v50, s0, v26, v51
	v_mad_co_u64_u32 v[60:61], null, s19, v60, v[53:54]
	s_wait_alu 0xf1ff
	v_add_co_ci_u32_e64 v51, s0, v27, v52, s0
	v_lshlrev_b64_e32 v[52:53], 4, v[54:55]
	s_delay_alu instid0(VALU_DEP_3) | instskip(SKIP_1) | instid1(VALU_DEP_3)
	v_dual_mov_b32 v54, v59 :: v_dual_mov_b32 v57, v60
	v_mad_co_u64_u32 v[60:61], null, s18, v195, 0
	v_add_co_u32 v122, s0, v26, v52
	s_delay_alu instid0(VALU_DEP_3)
	v_mad_co_u64_u32 v[54:55], null, s19, v62, v[54:55]
	s_wait_alu 0xf1ff
	v_add_co_ci_u32_e64 v123, s0, v27, v53, s0
	v_lshlrev_b64_e32 v[52:53], 4, v[56:57]
	v_mad_co_u64_u32 v[56:57], null, s18, v64, 0
	v_mov_b32_e32 v55, v61
	v_mov_b32_e32 v59, v54
	v_mad_co_u64_u32 v[62:63], null, s18, v65, 0
	v_add_co_u32 v124, s0, v26, v52
	s_delay_alu instid0(VALU_DEP_4)
	v_mad_co_u64_u32 v[54:55], null, s19, v195, v[55:56]
	v_mov_b32_e32 v52, v57
	v_lshlrev_b64_e32 v[57:58], 4, v[58:59]
	s_wait_alu 0xf1ff
	v_add_co_ci_u32_e64 v125, s0, v27, v53, s0
	v_mov_b32_e32 v55, v63
	v_mad_co_u64_u32 v[52:53], null, s19, v64, v[52:53]
	v_mov_b32_e32 v61, v54
	v_add_co_u32 v126, s0, v26, v57
	s_wait_alu 0xf1ff
	v_add_co_ci_u32_e64 v127, s0, v27, v58, s0
	s_delay_alu instid0(VALU_DEP_3) | instskip(SKIP_3) | instid1(VALU_DEP_3)
	v_lshlrev_b64_e32 v[53:54], 4, v[60:61]
	v_add_nc_u32_e32 v61, 0x6ae, v196
	v_mad_co_u64_u32 v[58:59], null, s19, v65, v[55:56]
	v_mad_co_u64_u32 v[59:60], null, s18, v197, 0
	v_mad_co_u64_u32 v[64:65], null, s18, v61, 0
	v_add_co_u32 v128, s0, v26, v53
	v_mov_b32_e32 v57, v52
	s_wait_alu 0xf1ff
	v_add_co_ci_u32_e64 v129, s0, v27, v54, s0
	s_delay_alu instid0(VALU_DEP_4) | instskip(NEXT) | instid1(VALU_DEP_3)
	v_dual_mov_b32 v54, v60 :: v_dual_mov_b32 v55, v65
	v_lshlrev_b64_e32 v[52:53], 4, v[56:57]
	v_mov_b32_e32 v63, v58
	s_delay_alu instid0(VALU_DEP_3) | instskip(SKIP_1) | instid1(VALU_DEP_4)
	v_mad_co_u64_u32 v[56:57], null, s19, v197, v[54:55]
	v_mad_co_u64_u32 v[57:58], null, s18, v66, 0
	v_add_co_u32 v130, s0, v26, v52
	s_wait_alu 0xf1ff
	v_add_co_ci_u32_e64 v131, s0, v27, v53, s0
	s_delay_alu instid0(VALU_DEP_4) | instskip(NEXT) | instid1(VALU_DEP_4)
	v_mad_co_u64_u32 v[54:55], null, s19, v61, v[55:56]
	v_mov_b32_e32 v55, v58
	v_lshlrev_b64_e32 v[52:53], 4, v[62:63]
	v_mov_b32_e32 v60, v56
	s_delay_alu instid0(VALU_DEP_3) | instskip(NEXT) | instid1(VALU_DEP_3)
	v_mad_co_u64_u32 v[16:17], null, s19, v66, v[55:56]
	v_add_co_u32 v17, s0, v26, v52
	v_mov_b32_e32 v65, v54
	s_wait_alu 0xf1ff
	v_add_co_ci_u32_e64 v18, s0, v27, v53, s0
	v_lshlrev_b64_e32 v[52:53], 4, v[59:60]
	v_mov_b32_e32 v58, v16
	v_lshlrev_b64_e32 v[19:20], 4, v[64:65]
	s_delay_alu instid0(VALU_DEP_3) | instskip(SKIP_1) | instid1(VALU_DEP_4)
	v_add_co_u32 v21, s0, v26, v52
	s_wait_alu 0xf1ff
	v_add_co_ci_u32_e64 v22, s0, v27, v53, s0
	v_lshlrev_b64_e32 v[52:53], 4, v[57:58]
	s_delay_alu instid0(VALU_DEP_4) | instskip(SKIP_2) | instid1(VALU_DEP_3)
	v_add_co_u32 v19, s0, v26, v19
	s_wait_alu 0xf1ff
	v_add_co_ci_u32_e64 v20, s0, v27, v20, s0
	v_add_co_u32 v132, s0, v26, v52
	s_wait_alu 0xf1ff
	v_add_co_ci_u32_e64 v133, s0, v27, v53, s0
	s_clause 0x15
	global_load_b128 v[108:111], v[24:25], off
	global_load_b128 v[100:103], v[28:29], off
	;; [unrolled: 1-line block ×22, first 2 shown]
.LBB0_13:
	s_or_b32 exec_lo, exec_lo, s1
	s_wait_loadcnt 0x1c
	v_add_f64_e32 v[124:125], v[14:15], v[6:7]
	s_wait_loadcnt 0x18
	v_add_f64_e32 v[136:137], v[114:115], v[118:119]
	;; [unrolled: 2-line block ×3, first 2 shown]
	v_add_f64_e32 v[122:123], v[12:13], v[4:5]
	v_add_f64_e32 v[126:127], v[8:9], v[12:13]
	;; [unrolled: 1-line block ×6, first 2 shown]
	s_wait_loadcnt 0x15
	v_add_f64_e32 v[142:143], v[108:109], v[104:105]
	v_add_f64_e32 v[144:145], v[110:111], v[106:107]
	s_wait_loadcnt 0x13
	v_add_f64_e32 v[146:147], v[92:93], v[100:101]
	s_wait_loadcnt 0x12
	v_add_f64_e32 v[148:149], v[96:97], v[92:93]
	v_add_f64_e32 v[150:151], v[94:95], v[102:103]
	s_wait_loadcnt 0x10
	v_add_f64_e32 v[164:165], v[78:79], v[86:87]
	s_wait_loadcnt 0xf
	;; [unrolled: 2-line block ×3, first 2 shown]
	v_add_f64_e32 v[170:171], v[68:69], v[64:65]
	v_add_f64_e32 v[156:157], v[80:81], v[76:77]
	;; [unrolled: 1-line block ×5, first 2 shown]
	s_wait_loadcnt 0x9
	v_add_f64_e32 v[176:177], v[56:57], v[52:53]
	s_wait_loadcnt 0x6
	v_add_f64_e32 v[178:179], v[44:45], v[40:41]
	v_add_f64_e32 v[172:173], v[66:67], v[74:75]
	v_add_f64_e32 v[174:175], v[70:71], v[66:67]
	s_wait_loadcnt 0x3
	v_add_f64_e32 v[180:181], v[32:33], v[36:37]
	v_add_f64_e32 v[138:139], v[104:105], v[88:89]
	v_add_f64_e64 v[162:163], v[116:117], -v[112:113]
	v_add_f64_e64 v[158:159], v[118:119], -v[114:115]
	;; [unrolled: 1-line block ×8, first 2 shown]
	s_mov_b32 s2, 0xe8584caa
	s_mov_b32 s3, 0xbfebb67a
	;; [unrolled: 1-line block ×3, first 2 shown]
	v_add_f64_e32 v[116:117], v[10:11], v[124:125]
	v_fma_f64 v[124:125], v[136:137], -0.5, v[2:3]
	s_wait_loadcnt 0x0
	v_add_f64_e32 v[2:3], v[20:21], v[16:17]
	v_add_f64_e32 v[118:119], v[110:111], v[140:141]
	;; [unrolled: 1-line block ×4, first 2 shown]
	v_fma_f64 v[4:5], v[126:127], -0.5, v[4:5]
	v_fma_f64 v[6:7], v[128:129], -0.5, v[6:7]
	v_add_f64_e32 v[10:11], v[112:113], v[130:131]
	v_add_f64_e32 v[112:113], v[114:115], v[132:133]
	v_fma_f64 v[0:1], v[134:135], -0.5, v[0:1]
	v_add_f64_e32 v[122:123], v[52:53], v[60:61]
	v_fma_f64 v[88:89], v[142:143], -0.5, v[88:89]
	v_fma_f64 v[128:129], v[144:145], -0.5, v[90:91]
	v_add_f64_e64 v[90:91], v[94:95], -v[98:99]
	v_add_f64_e32 v[94:95], v[96:97], v[146:147]
	v_fma_f64 v[100:101], v[148:149], -0.5, v[100:101]
	v_add_f64_e32 v[114:115], v[98:99], v[150:151]
	v_add_f64_e64 v[132:133], v[92:93], -v[96:97]
	v_add_f64_e64 v[96:97], v[78:79], -v[82:83]
	v_add_f64_e32 v[98:99], v[40:41], v[48:49]
	v_add_f64_e32 v[78:79], v[82:83], v[164:165]
	v_fma_f64 v[82:83], v[166:167], -0.5, v[86:87]
	v_add_f64_e32 v[86:87], v[46:47], v[42:43]
	v_fma_f64 v[72:73], v[170:171], -0.5, v[72:73]
	v_add_f64_e64 v[134:135], v[66:67], -v[70:71]
	v_fma_f64 v[84:85], v[156:157], -0.5, v[84:85]
	v_add_f64_e32 v[126:127], v[58:59], v[54:55]
	v_fma_f64 v[130:131], v[152:153], -0.5, v[102:103]
	v_add_f64_e32 v[92:93], v[80:81], v[154:155]
	v_add_f64_e32 v[102:103], v[42:43], v[50:51]
	;; [unrolled: 1-line block ×3, first 2 shown]
	v_fma_f64 v[60:61], v[176:177], -0.5, v[60:61]
	v_add_f64_e32 v[68:69], v[36:37], v[28:29]
	v_add_f64_e64 v[54:55], v[54:55], -v[58:59]
	v_fma_f64 v[48:49], v[178:179], -0.5, v[48:49]
	v_add_f64_e64 v[42:43], v[42:43], -v[46:47]
	v_add_f64_e32 v[66:67], v[70:71], v[172:173]
	v_fma_f64 v[70:71], v[174:175], -0.5, v[74:75]
	v_add_f64_e64 v[74:75], v[38:39], -v[34:35]
	v_fma_f64 v[28:29], v[180:181], -0.5, v[28:29]
	v_add_f64_e32 v[108:109], v[108:109], v[138:139]
	v_fma_f64 v[2:3], v[2:3], -0.5, v[24:25]
	v_add_f64_e64 v[136:137], v[18:19], -v[22:23]
	v_add_f64_e32 v[138:139], v[16:17], v[24:25]
	v_add_f64_e32 v[140:141], v[38:39], v[30:31]
	;; [unrolled: 1-line block ×5, first 2 shown]
	s_wait_alu 0xfffe
	s_mov_b32 s4, s2
	v_add_f64_e32 v[122:123], v[56:57], v[122:123]
	v_fma_f64 v[110:111], v[14:15], s[2:3], v[4:5]
	s_wait_alu 0xfffe
	v_fma_f64 v[4:5], v[14:15], s[4:5], v[4:5]
	v_add_f64_e64 v[14:15], v[52:53], -v[56:57]
	v_fma_f64 v[52:53], v[158:159], s[2:3], v[0:1]
	v_add_f64_e64 v[40:41], v[40:41], -v[44:45]
	;; [unrolled: 2-line block ×3, first 2 shown]
	v_add_f64_e32 v[56:57], v[44:45], v[98:99]
	v_fma_f64 v[98:99], v[106:107], s[2:3], v[88:89]
	v_fma_f64 v[88:89], v[106:107], s[4:5], v[88:89]
	v_fma_f64 v[50:51], v[86:87], -0.5, v[50:51]
	v_fma_f64 v[86:87], v[90:91], s[2:3], v[100:101]
	v_fma_f64 v[44:45], v[134:135], s[2:3], v[72:73]
	;; [unrolled: 1-line block ×6, first 2 shown]
	v_fma_f64 v[62:63], v[126:127], -0.5, v[62:63]
	v_add_f64_e32 v[18:19], v[18:19], v[26:27]
	v_mad_u32_u24 v142, v196, 24, 0
	v_add_f64_e32 v[32:33], v[32:33], v[68:69]
	v_fma_f64 v[68:69], v[54:55], s[2:3], v[60:61]
	v_fma_f64 v[54:55], v[54:55], s[4:5], v[60:61]
	;; [unrolled: 1-line block ×4, first 2 shown]
	v_mad_i32_i24 v143, v217, 24, 0
	v_mad_i32_i24 v144, v218, 24, 0
	v_fma_f64 v[48:49], v[74:75], s[2:3], v[28:29]
	v_fma_f64 v[28:29], v[74:75], s[4:5], v[28:29]
	v_mad_i32_i24 v198, v190, 24, 0
	v_fma_f64 v[74:75], v[136:137], s[2:3], v[2:3]
	v_add_f64_e32 v[96:97], v[20:21], v[138:139]
	v_fma_f64 v[2:3], v[136:137], s[4:5], v[2:3]
	v_fma_f64 v[30:31], v[38:39], -0.5, v[30:31]
	v_fma_f64 v[38:39], v[12:13], s[4:5], v[6:7]
	v_fma_f64 v[26:27], v[58:59], -0.5, v[26:27]
	v_fma_f64 v[58:59], v[12:13], s[2:3], v[6:7]
	v_add_f64_e64 v[12:13], v[16:17], -v[20:21]
	v_mad_i32_i24 v146, v192, 24, 0
	v_mad_i32_i24 v145, v191, 24, 0
	s_load_b64 s[10:11], s[10:11], 0x0
	ds_store_2addr_b64 v142, v[8:9], v[110:111] offset1:1
	ds_store_b64 v142, v[4:5] offset:16
	ds_store_2addr_b64 v143, v[10:11], v[52:53] offset1:1
	ds_store_b64 v143, v[0:1] offset:16
	ds_store_2addr_b64 v144, v[108:109], v[98:99] offset1:1
	ds_store_b64 v144, v[88:89] offset:16
	ds_store_2addr_b64 v198, v[94:95], v[86:87] offset1:1
	ds_store_b64 v198, v[90:91] offset:16
	ds_store_2addr_b64 v145, v[92:93], v[100:101] offset1:1
	ds_store_b64 v145, v[84:85] offset:16
	v_mad_i32_i24 v199, v193, 24, 0
	ds_store_2addr_b64 v146, v[80:81], v[44:45] offset1:1
	ds_store_b64 v146, v[72:73] offset:16
	v_mad_i32_i24 v72, v194, 24, 0
	v_mad_i32_i24 v73, v195, 24, 0
	;; [unrolled: 1-line block ×3, first 2 shown]
	ds_store_2addr_b64 v199, v[122:123], v[68:69] offset1:1
	ds_store_b64 v199, v[54:55] offset:16
	ds_store_2addr_b64 v72, v[56:57], v[60:61] offset1:1
	ds_store_b64 v72, v[42:43] offset:16
	;; [unrolled: 2-line block ×4, first 2 shown]
	v_fma_f64 v[28:29], v[162:163], s[4:5], v[124:125]
	v_fma_f64 v[32:33], v[162:163], s[2:3], v[124:125]
	v_fma_f64 v[42:43], v[104:105], s[4:5], v[128:129]
	v_fma_f64 v[48:49], v[132:133], s[4:5], v[130:131]
	v_fma_f64 v[54:55], v[76:77], s[4:5], v[82:83]
	v_fma_f64 v[60:61], v[64:65], s[4:5], v[70:71]
	v_fma_f64 v[68:69], v[14:15], s[4:5], v[62:63]
	v_fma_f64 v[44:45], v[104:105], s[2:3], v[128:129]
	v_fma_f64 v[52:53], v[132:133], s[2:3], v[130:131]
	v_fma_f64 v[56:57], v[76:77], s[2:3], v[82:83]
	v_fma_f64 v[64:65], v[64:65], s[2:3], v[70:71]
	v_fma_f64 v[62:63], v[14:15], s[2:3], v[62:63]
	v_and_b32_e32 v184, 0xff, v196
	v_add_f64_e32 v[46:47], v[46:47], v[102:103]
	v_add_f64_e32 v[34:35], v[34:35], v[140:141]
	v_fma_f64 v[70:71], v[40:41], s[4:5], v[50:51]
	v_fma_f64 v[40:41], v[40:41], s[2:3], v[50:51]
	;; [unrolled: 1-line block ×4, first 2 shown]
	v_add_f64_e32 v[134:135], v[22:23], v[18:19]
	v_fma_f64 v[36:37], v[12:13], s[4:5], v[26:27]
	v_lshlrev_b32_e32 v203, 4, v190
	v_lshlrev_b32_e32 v204, 4, v193
	v_lshl_add_u32 v201, v196, 3, 0
	v_fma_f64 v[26:27], v[12:13], s[2:3], v[26:27]
	v_mul_lo_u16 v74, 0xab, v184
	v_lshlrev_b32_e32 v206, 4, v197
	v_sub_nc_u32_e32 v219, v198, v203
	v_sub_nc_u32_e32 v220, v199, v204
	v_add_nc_u32_e32 v205, 0x2400, v201
	v_add_nc_u32_e32 v207, 0x3800, v201
	;; [unrolled: 1-line block ×6, first 2 shown]
	v_lshrrev_b16 v223, 9, v74
	v_sub_nc_u32_e32 v221, v200, v206
	v_add_nc_u32_e32 v209, 0x3000, v201
	v_add_nc_u32_e32 v211, 0x4800, v201
	v_lshl_add_u32 v212, v218, 3, 0
	v_add_nc_u32_e32 v215, 0x3c00, v201
	v_add_nc_u32_e32 v202, 0x2000, v201
	;; [unrolled: 1-line block ×3, first 2 shown]
	v_lshl_add_u32 v208, v217, 3, 0
	v_add_nc_u32_e32 v183, 0x800, v201
	global_wb scope:SCOPE_SE
	s_wait_dscnt 0x0
	s_wait_kmcnt 0x0
	s_barrier_signal -1
	s_barrier_wait -1
	global_inv scope:SCOPE_SE
	ds_load_b64 v[136:137], v220
	ds_load_b64 v[140:141], v221
	ds_load_2addr_b64 v[100:103], v202 offset0:56 offset1:146
	ds_load_2addr_b64 v[20:23], v205 offset0:108 offset1:198
	ds_load_2addr_b64 v[92:95], v209 offset0:84 offset1:174
	ds_load_2addr_b64 v[0:3], v207 offset0:8 offset1:98
	ds_load_2addr_b64 v[96:99], v210 offset0:112 offset1:202
	ds_load_2addr_b64 v[4:7], v211 offset0:36 offset1:126
	ds_load_b64 v[126:127], v201
	ds_load_b64 v[122:123], v208
	ds_load_2addr_b64 v[88:91], v183 offset0:104 offset1:194
	ds_load_b64 v[138:139], v219
	ds_load_b64 v[124:125], v212
	ds_load_2addr_b64 v[108:111], v182 offset0:118 offset1:208
	ds_load_2addr_b64 v[104:107], v213 offset0:132 offset1:222
	;; [unrolled: 1-line block ×5, first 2 shown]
	global_wb scope:SCOPE_SE
	s_wait_dscnt 0x0
	s_barrier_signal -1
	s_barrier_wait -1
	global_inv scope:SCOPE_SE
	ds_store_2addr_b64 v142, v[116:117], v[38:39] offset1:1
	ds_store_b64 v142, v[58:59] offset:16
	ds_store_2addr_b64 v143, v[112:113], v[28:29] offset1:1
	ds_store_b64 v143, v[32:33] offset:16
	v_mul_lo_u16 v28, v223, 3
	v_and_b32_e32 v185, 0xff, v217
	ds_store_2addr_b64 v144, v[118:119], v[42:43] offset1:1
	ds_store_b64 v144, v[44:45] offset:16
	ds_store_2addr_b64 v198, v[114:115], v[48:49] offset1:1
	ds_store_b64 v198, v[52:53] offset:16
	ds_store_2addr_b64 v145, v[78:79], v[54:55] offset1:1
	ds_store_b64 v145, v[56:57] offset:16
	v_sub_nc_u16 v28, v196, v28
	v_mul_lo_u16 v38, 0xab, v185
	ds_store_2addr_b64 v146, v[66:67], v[60:61] offset1:1
	ds_store_b64 v146, v[64:65] offset:16
	ds_store_2addr_b64 v199, v[24:25], v[68:69] offset1:1
	ds_store_b64 v199, v[62:63] offset:16
	;; [unrolled: 2-line block ×3, first 2 shown]
	v_and_b32_e32 v224, 0xff, v28
	v_lshrrev_b16 v187, 9, v38
	ds_store_2addr_b64 v73, v[34:35], v[50:51] offset1:1
	ds_store_b64 v73, v[30:31] offset:16
	ds_store_2addr_b64 v200, v[134:135], v[36:37] offset1:1
	ds_store_b64 v200, v[26:27] offset:16
	global_wb scope:SCOPE_SE
	s_wait_dscnt 0x0
	s_barrier_signal -1
	v_mul_u32_u24_e32 v25, 9, v224
	v_mul_lo_u16 v29, v187, 3
	s_barrier_wait -1
	global_inv scope:SCOPE_SE
	v_and_b32_e32 v186, 0xffff, v218
	v_lshlrev_b32_e32 v56, 4, v25
	v_sub_nc_u16 v24, v217, v29
	s_mov_b32 s18, 0x134454ff
	s_mov_b32 s19, 0xbfee6f0e
	;; [unrolled: 1-line block ×3, first 2 shown]
	global_load_b128 v[112:115], v56, s[8:9] offset:48
	v_and_b32_e32 v188, 0xff, v24
	s_wait_alu 0xfffe
	s_mov_b32 s0, s18
	s_mov_b32 s14, 0x4755a5e
	;; [unrolled: 1-line block ×4, first 2 shown]
	v_mul_u32_u24_e32 v24, 9, v188
	s_mov_b32 s12, s14
	s_mov_b32 s20, 0x372fe950
	;; [unrolled: 1-line block ×4, first 2 shown]
	v_lshlrev_b32_e32 v52, 4, v24
	s_clause 0x5
	global_load_b128 v[116:119], v52, s[8:9] offset:48
	global_load_b128 v[128:131], v56, s[8:9] offset:80
	;; [unrolled: 1-line block ×5, first 2 shown]
	global_load_b128 v[172:175], v52, s[8:9]
	v_mul_u32_u24_e32 v24, 0xaaab, v186
	s_mov_b32 s23, 0x3fe9e377
	s_mov_b32 s27, 0xbfd3c6ef
	;; [unrolled: 1-line block ×4, first 2 shown]
	v_lshrrev_b32_e32 v222, 17, v24
	s_mov_b32 s24, s22
	s_delay_alu instid0(VALU_DEP_1) | instskip(SKIP_1) | instid1(VALU_DEP_2)
	v_mul_lo_u16 v24, v222, 3
	v_mul_u32_u24_e32 v222, 0xf0, v222
	v_sub_nc_u16 v24, v218, v24
	s_delay_alu instid0(VALU_DEP_1) | instskip(NEXT) | instid1(VALU_DEP_1)
	v_and_b32_e32 v189, 0xffff, v24
	v_mul_u32_u24_e32 v24, 9, v189
	v_lshlrev_b32_e32 v189, 3, v189
	s_delay_alu instid0(VALU_DEP_2)
	v_lshlrev_b32_e32 v84, 4, v24
	s_clause 0x13
	global_load_b128 v[178:181], v84, s[8:9]
	global_load_b128 v[225:228], v52, s[8:9] offset:16
	global_load_b128 v[229:232], v84, s[8:9] offset:16
	;; [unrolled: 1-line block ×14, first 2 shown]
	global_load_b128 v[68:71], v56, s[8:9]
	global_load_b128 v[64:67], v84, s[8:9] offset:80
	global_load_b128 v[60:63], v84, s[8:9] offset:96
	;; [unrolled: 1-line block ×4, first 2 shown]
	ds_load_2addr_b64 v[142:145], v202 offset0:56 offset1:146
	ds_load_2addr_b64 v[146:149], v209 offset0:84 offset1:174
	;; [unrolled: 1-line block ×4, first 2 shown]
	v_add3_u32 v189, 0, v222, v189
	s_wait_loadcnt_dscnt 0x1a03
	v_mul_f64_e32 v[150:151], v[142:143], v[114:115]
	v_mul_f64_e32 v[114:115], v[100:101], v[114:115]
	s_wait_loadcnt 0x19
	v_mul_f64_e32 v[152:153], v[144:145], v[118:119]
	s_wait_loadcnt_dscnt 0x1802
	v_mul_f64_e32 v[156:157], v[146:147], v[130:131]
	v_mul_f64_e32 v[118:119], v[102:103], v[118:119]
	;; [unrolled: 1-line block ×3, first 2 shown]
	s_wait_loadcnt_dscnt 0x1501
	v_mul_f64_e32 v[176:177], v[239:240], v[170:171]
	v_mul_f64_e32 v[170:171], v[98:99], v[170:171]
	s_wait_loadcnt 0x13
	v_mul_f64_e32 v[245:246], v[90:91], v[180:181]
	v_fma_f64 v[154:155], v[100:101], v[112:113], v[150:151]
	v_fma_f64 v[158:159], v[142:143], v[112:113], -v[114:115]
	v_mul_f64_e32 v[112:113], v[148:149], v[134:135]
	v_mul_f64_e32 v[114:115], v[94:95], v[134:135]
	;; [unrolled: 1-line block ×4, first 2 shown]
	v_fma_f64 v[150:151], v[102:103], v[116:117], v[152:153]
	ds_load_2addr_b64 v[100:103], v183 offset0:104 offset1:194
	v_fma_f64 v[162:163], v[92:93], v[128:129], v[156:157]
	v_mul_f64_e32 v[156:157], v[88:89], v[174:175]
	v_fma_f64 v[144:145], v[144:145], v[116:117], -v[118:119]
	v_fma_f64 v[134:135], v[146:147], v[128:129], -v[130:131]
	ds_load_2addr_b64 v[116:119], v213 offset0:132 offset1:222
	v_fma_f64 v[128:129], v[239:240], v[168:169], -v[170:171]
	s_wait_loadcnt 0x11
	v_mul_f64_e32 v[170:171], v[110:111], v[231:232]
	s_wait_dscnt 0x1
	v_mul_f64_e32 v[92:93], v[100:101], v[174:175]
	v_fma_f64 v[152:153], v[94:95], v[132:133], v[112:113]
	v_mul_f64_e32 v[94:95], v[102:103], v[180:181]
	v_fma_f64 v[132:133], v[148:149], v[132:133], -v[114:115]
	v_fma_f64 v[146:147], v[96:97], v[164:165], v[142:143]
	v_mul_f64_e32 v[96:97], v[241:242], v[227:228]
	v_mul_f64_e32 v[227:228], v[108:109], v[227:228]
	v_fma_f64 v[142:143], v[98:99], v[168:169], v[176:177]
	v_mul_f64_e32 v[98:99], v[243:244], v[231:232]
	ds_load_2addr_b64 v[112:115], v205 offset0:108 offset1:198
	v_fma_f64 v[130:131], v[237:238], v[164:165], -v[166:167]
	s_wait_loadcnt_dscnt 0x1001
	v_mul_f64_e32 v[231:232], v[116:117], v[235:236]
	v_mul_f64_e32 v[235:236], v[104:105], v[235:236]
	s_wait_loadcnt 0xf
	v_mul_f64_e32 v[237:238], v[118:119], v[50:51]
	v_mul_f64_e32 v[180:181], v[106:107], v[50:51]
	s_wait_loadcnt 0xe
	v_mul_f64_e32 v[176:177], v[22:23], v[42:43]
	v_fma_f64 v[148:149], v[100:101], v[172:173], -v[156:157]
	v_fma_f64 v[50:51], v[102:103], v[178:179], -v[245:246]
	ds_load_b64 v[168:169], v221
	s_wait_dscnt 0x1
	v_mul_f64_e32 v[174:175], v[114:115], v[42:43]
	v_fma_f64 v[42:43], v[243:244], v[229:230], -v[170:171]
	v_fma_f64 v[166:167], v[88:89], v[172:173], v[92:93]
	s_wait_loadcnt 0xd
	v_mul_f64_e32 v[172:173], v[20:21], v[46:47]
	v_fma_f64 v[164:165], v[90:91], v[178:179], v[94:95]
	v_mul_f64_e32 v[178:179], v[112:113], v[46:47]
	ds_load_2addr_b64 v[92:95], v214 offset0:160 offset1:250
	v_fma_f64 v[108:109], v[108:109], v[225:226], v[96:97]
	v_fma_f64 v[156:157], v[241:242], v[225:226], -v[227:228]
	ds_load_2addr_b64 v[88:91], v211 offset0:36 offset1:126
	v_fma_f64 v[46:47], v[110:111], v[229:230], v[98:99]
	ds_load_2addr_b64 v[96:99], v207 offset0:8 offset1:98
	ds_load_2addr_b64 v[100:103], v215 offset0:60 offset1:150
	;; [unrolled: 1-line block ×3, first 2 shown]
	v_fma_f64 v[104:105], v[104:105], v[233:234], v[231:232]
	v_fma_f64 v[110:111], v[116:117], v[233:234], -v[235:236]
	s_wait_loadcnt 0xc
	v_mul_f64_e32 v[116:117], v[16:17], v[34:35]
	s_wait_loadcnt 0xb
	v_mul_f64_e32 v[229:230], v[140:141], v[82:83]
	;; [unrolled: 2-line block ×3, first 2 shown]
	v_lshlrev_b32_e32 v241, 3, v188
	s_wait_dscnt 0x4
	v_mul_f64_e32 v[170:171], v[92:93], v[34:35]
	v_fma_f64 v[34:35], v[106:107], v[48:49], v[237:238]
	v_fma_f64 v[48:49], v[118:119], v[48:49], -v[180:181]
	v_mul_f64_e32 v[180:181], v[168:169], v[82:83]
	s_wait_dscnt 0x3
	v_mul_f64_e32 v[233:234], v[90:91], v[30:31]
	v_fma_f64 v[106:107], v[22:23], v[40:41], v[174:175]
	v_fma_f64 v[82:83], v[114:115], v[40:41], -v[176:177]
	s_wait_loadcnt 0x9
	v_mul_f64_e32 v[114:115], v[2:3], v[26:27]
	s_wait_dscnt 0x2
	v_mul_f64_e32 v[174:175], v[98:99], v[26:27]
	s_wait_loadcnt_dscnt 0x801
	v_mul_f64_e32 v[176:177], v[100:101], v[38:39]
	ds_load_b64 v[118:119], v220
	ds_load_b64 v[30:31], v212
	v_fma_f64 v[40:41], v[20:21], v[44:45], v[178:179]
	v_mul_f64_e32 v[178:179], v[12:13], v[38:39]
	v_fma_f64 v[20:21], v[112:113], v[44:45], -v[172:173]
	s_wait_loadcnt_dscnt 0x702
	v_mul_f64_e32 v[112:113], v[225:226], v[78:79]
	v_mul_f64_e32 v[78:79], v[8:9], v[78:79]
	ds_load_b64 v[172:173], v219
	v_fma_f64 v[22:23], v[92:93], v[32:33], -v[116:117]
	s_wait_loadcnt 0x5
	v_mul_f64_e32 v[92:93], v[94:95], v[74:75]
	v_mul_f64_e32 v[116:117], v[18:19], v[74:75]
	s_wait_dscnt 0x2
	v_mul_f64_e32 v[235:236], v[118:119], v[54:55]
	v_fma_f64 v[38:39], v[16:17], v[32:33], v[170:171]
	v_fma_f64 v[32:33], v[168:169], v[80:81], -v[229:230]
	s_wait_loadcnt 0x4
	v_mul_f64_e32 v[168:169], v[138:139], v[70:71]
	v_fma_f64 v[44:45], v[140:141], v[80:81], v[180:181]
	s_wait_dscnt 0x0
	v_mul_f64_e32 v[80:81], v[172:173], v[70:71]
	v_fma_f64 v[16:17], v[90:91], v[28:29], -v[231:232]
	v_fma_f64 v[28:29], v[6:7], v[28:29], v[233:234]
	v_fma_f64 v[26:27], v[98:99], v[24:25], -v[114:115]
	v_fma_f64 v[70:71], v[2:3], v[24:25], v[174:175]
	v_mul_f64_e32 v[114:115], v[136:137], v[54:55]
	v_fma_f64 v[54:55], v[12:13], v[36:37], v[176:177]
	s_wait_loadcnt 0x3
	v_mul_f64_e32 v[140:141], v[96:97], v[66:67]
	v_mul_f64_e32 v[90:91], v[0:1], v[66:67]
	s_wait_loadcnt 0x2
	v_mul_f64_e32 v[170:171], v[102:103], v[62:63]
	v_mul_f64_e32 v[98:99], v[14:15], v[62:63]
	s_wait_loadcnt 0x1
	v_mul_f64_e32 v[174:175], v[4:5], v[58:59]
	v_add_f64_e64 v[233:234], v[46:47], -v[40:41]
	v_fma_f64 v[6:7], v[100:101], v[36:37], -v[178:179]
	v_mul_f64_e32 v[100:101], v[88:89], v[58:59]
	v_fma_f64 v[24:25], v[8:9], v[76:77], v[112:113]
	v_fma_f64 v[2:3], v[225:226], v[76:77], -v[78:79]
	s_wait_loadcnt 0x0
	v_mul_f64_e32 v[75:76], v[227:228], v[86:87]
	v_mul_f64_e32 v[77:78], v[10:11], v[86:87]
	v_and_b32_e32 v8, 0xffff, v223
	v_lshlrev_b32_e32 v9, 3, v224
	v_add_f64_e64 v[112:113], v[142:143], -v[152:153]
	v_add_f64_e64 v[229:230], v[22:23], -v[110:111]
	v_fma_f64 v[62:63], v[18:19], v[72:73], v[92:93]
	v_fma_f64 v[18:19], v[94:95], v[72:73], -v[116:117]
	v_fma_f64 v[36:37], v[136:137], v[52:53], v[235:236]
	v_mul_u32_u24_e32 v8, 0xf0, v8
	v_add_f64_e32 v[223:224], v[108:109], v[142:143]
	s_delay_alu instid0(VALU_DEP_2)
	v_add3_u32 v74, 0, v8, v9
	v_fma_f64 v[72:73], v[172:173], v[68:69], -v[168:169]
	v_add_f64_e64 v[86:87], v[44:45], -v[106:107]
	v_fma_f64 v[68:69], v[138:139], v[68:69], v[80:81]
	v_add_f64_e64 v[79:80], v[82:83], -v[32:33]
	v_add_f64_e64 v[138:139], v[150:151], -v[108:109]
	v_add_f64_e64 v[168:169], v[38:39], -v[104:105]
	v_add_f64_e64 v[92:93], v[70:71], -v[28:29]
	v_fma_f64 v[52:53], v[118:119], v[52:53], -v[114:115]
	v_add_f64_e64 v[114:115], v[104:105], -v[38:39]
	v_add_f64_e64 v[118:119], v[110:111], -v[22:23]
	v_fma_f64 v[66:67], v[0:1], v[64:65], v[140:141]
	v_fma_f64 v[12:13], v[96:97], v[64:65], -v[90:91]
	v_fma_f64 v[58:59], v[14:15], v[60:61], v[170:171]
	v_fma_f64 v[8:9], v[102:103], v[60:61], -v[98:99]
	v_fma_f64 v[0:1], v[88:89], v[56:57], -v[174:175]
	v_add_f64_e32 v[60:61], v[44:45], v[28:29]
	v_add_f64_e32 v[64:65], v[106:107], v[70:71]
	v_fma_f64 v[14:15], v[4:5], v[56:57], v[100:101]
	v_add_f64_e64 v[116:117], v[24:25], -v[54:55]
	v_add_f64_e64 v[136:137], v[2:3], -v[6:7]
	v_fma_f64 v[10:11], v[10:11], v[84:85], v[75:76]
	v_fma_f64 v[4:5], v[227:228], v[84:85], -v[77:78]
	v_add_f64_e64 v[75:76], v[32:33], -v[82:83]
	v_add_f64_e64 v[77:78], v[16:17], -v[26:27]
	;; [unrolled: 1-line block ×12, first 2 shown]
	v_add_f64_e32 v[174:175], v[154:155], v[162:163]
	v_add_f64_e32 v[176:177], v[36:37], v[146:147]
	;; [unrolled: 1-line block ×4, first 2 shown]
	v_add_f64_e64 v[231:232], v[6:7], -v[2:3]
	v_add_f64_e32 v[56:57], v[32:33], v[16:17]
	v_add_f64_e32 v[172:173], v[82:83], v[26:27]
	;; [unrolled: 1-line block ×4, first 2 shown]
	v_add_f64_e64 v[237:238], v[34:35], -v[62:63]
	v_fma_f64 v[223:224], v[223:224], -0.5, v[122:123]
	v_add_f64_e64 v[44:45], v[44:45], -v[28:29]
	v_fma_f64 v[60:61], v[60:61], -0.5, v[68:69]
	v_fma_f64 v[64:65], v[64:65], -0.5, v[68:69]
	v_add_f64_e64 v[235:236], v[14:15], -v[66:67]
	v_add_f64_e32 v[114:115], v[114:115], v[116:117]
	v_add_f64_e64 v[116:117], v[52:53], -v[158:159]
	v_add_f64_e32 v[118:119], v[118:119], v[136:137]
	v_add_f64_e64 v[136:137], v[130:131], -v[134:135]
	v_add_f64_e64 v[239:240], v[10:11], -v[58:59]
	;; [unrolled: 1-line block ×3, first 2 shown]
	v_add_f64_e32 v[75:76], v[75:76], v[77:78]
	v_add_f64_e64 v[77:78], v[4:5], -v[8:9]
	v_add_f64_e32 v[79:80], v[79:80], v[84:85]
	v_add_f64_e64 v[84:85], v[40:41], -v[46:47]
	;; [unrolled: 2-line block ×7, first 2 shown]
	v_add_f64_e32 v[138:139], v[138:139], v[140:141]
	v_add_f64_e32 v[140:141], v[158:159], v[134:135]
	;; [unrolled: 1-line block ×4, first 2 shown]
	v_fma_f64 v[174:175], v[174:175], -0.5, v[126:127]
	v_fma_f64 v[176:177], v[176:177], -0.5, v[126:127]
	v_add_f64_e32 v[126:127], v[126:127], v[36:37]
	v_fma_f64 v[180:181], v[180:181], -0.5, v[166:167]
	v_fma_f64 v[225:226], v[225:226], -0.5, v[166:167]
	v_add_f64_e32 v[166:167], v[166:167], v[104:105]
	v_add_f64_e32 v[229:230], v[229:230], v[231:232]
	ds_load_b64 v[231:232], v201
	v_fma_f64 v[56:57], v[56:57], -0.5, v[72:73]
	v_fma_f64 v[172:173], v[172:173], -0.5, v[72:73]
	v_add_f64_e32 v[72:73], v[72:73], v[32:33]
	v_fma_f64 v[227:228], v[227:228], -0.5, v[122:123]
	v_add_f64_e32 v[122:123], v[122:123], v[108:109]
	v_add_f64_e32 v[233:234], v[233:234], v[235:236]
	ds_load_b64 v[235:236], v208
	v_add_f64_e32 v[178:179], v[178:179], v[106:107]
	v_add_f64_e64 v[106:107], v[106:107], -v[70:71]
	v_add_f64_e32 v[116:117], v[116:117], v[136:137]
	v_add_f64_e32 v[136:137], v[124:125], v[46:47]
	;; [unrolled: 1-line block ×6, first 2 shown]
	v_add_f64_e64 v[32:33], v[32:33], -v[16:17]
	v_add_f64_e64 v[36:37], v[36:37], -v[146:147]
	v_add_f64_e32 v[84:85], v[84:85], v[88:89]
	v_add_f64_e32 v[88:89], v[62:63], v[58:59]
	v_add_f64_e64 v[104:105], v[104:105], -v[24:25]
	v_add_f64_e64 v[108:109], v[108:109], -v[142:143]
	v_add_f64_e32 v[92:93], v[92:93], v[96:97]
	v_add_f64_e32 v[96:97], v[34:35], v[10:11]
	v_add_f64_e64 v[46:47], v[46:47], -v[14:15]
	global_wb scope:SCOPE_SE
	s_wait_dscnt 0x0
	v_add_f64_e32 v[100:101], v[100:101], v[112:113]
	v_add_f64_e32 v[112:113], v[231:232], v[52:53]
	v_fma_f64 v[140:141], v[140:141], -0.5, v[231:232]
	s_barrier_signal -1
	v_fma_f64 v[170:171], v[170:171], -0.5, v[231:232]
	v_add_f64_e32 v[231:232], v[164:165], v[34:35]
	v_add_f64_e64 v[34:35], v[34:35], -v[10:11]
	v_add_f64_e32 v[126:127], v[126:127], v[154:155]
	v_add_f64_e64 v[154:155], v[154:155], -v[162:163]
	s_barrier_wait -1
	v_add_f64_e32 v[166:167], v[166:167], v[38:39]
	v_add_f64_e64 v[38:39], v[38:39], -v[54:55]
	global_inv scope:SCOPE_SE
	v_add_f64_e32 v[72:73], v[72:73], v[82:83]
	v_add_f64_e64 v[81:82], v[82:83], -v[26:27]
	v_add_f64_e32 v[122:123], v[122:123], v[150:151]
	v_add_f64_e64 v[150:151], v[150:151], -v[152:153]
	v_and_b32_e32 v83, 0xffff, v187
	v_add_f64_e32 v[70:71], v[178:179], v[70:71]
	v_add_f64_e64 v[178:179], v[158:159], -v[134:135]
	v_add_f64_e32 v[136:137], v[136:137], v[40:41]
	v_add_f64_e64 v[40:41], v[40:41], -v[66:67]
	v_fma_f64 v[239:240], v[239:240], -0.5, v[124:125]
	v_mul_u32_u24_e32 v83, 0xf0, v83
	v_fma_f64 v[77:78], v[77:78], -0.5, v[124:125]
	v_add_f64_e32 v[124:125], v[144:145], v[132:133]
	v_fma_f64 v[88:89], v[88:89], -0.5, v[164:165]
	v_fma_f64 v[96:97], v[96:97], -0.5, v[164:165]
	v_add_f64_e32 v[164:165], v[156:157], v[128:129]
	v_add_f64_e32 v[112:113], v[112:113], v[158:159]
	v_add_f64_e64 v[158:159], v[158:159], -v[52:53]
	v_add_f64_e64 v[52:53], v[52:53], -v[130:131]
	v_add_f64_e32 v[231:232], v[231:232], v[62:63]
	v_add_f64_e64 v[62:63], v[62:63], -v[58:59]
	v_add_f64_e32 v[126:127], v[126:127], v[162:163]
	v_fma_f64 v[162:163], v[106:107], s[18:19], v[56:57]
	s_wait_alu 0xfffe
	v_fma_f64 v[56:57], v[106:107], s[0:1], v[56:57]
	v_add_f64_e32 v[54:55], v[166:167], v[54:55]
	v_fma_f64 v[166:167], v[44:45], s[0:1], v[172:173]
	v_fma_f64 v[172:173], v[44:45], s[18:19], v[172:173]
	v_add_f64_e32 v[26:27], v[72:73], v[26:27]
	v_add_f64_e32 v[122:123], v[122:123], v[152:153]
	v_fma_f64 v[152:153], v[81:82], s[0:1], v[60:61]
	v_fma_f64 v[60:61], v[81:82], s[18:19], v[60:61]
	v_add_f64_e32 v[70:71], v[70:71], v[28:29]
	v_add_f64_e64 v[28:29], v[22:23], -v[6:7]
	v_add_f64_e32 v[66:67], v[136:137], v[66:67]
	v_fma_f64 v[136:137], v[32:33], s[18:19], v[64:65]
	v_fma_f64 v[64:65], v[32:33], s[0:1], v[64:65]
	v_fma_f64 v[124:125], v[124:125], -0.5, v[235:236]
	v_fma_f64 v[164:165], v[164:165], -0.5, v[235:236]
	v_add_f64_e32 v[235:236], v[235:236], v[156:157]
	v_add_f64_e32 v[112:113], v[112:113], v[134:135]
	;; [unrolled: 1-line block ×3, first 2 shown]
	v_fma_f64 v[231:232], v[178:179], s[0:1], v[176:177]
	v_fma_f64 v[176:177], v[178:179], s[18:19], v[176:177]
	;; [unrolled: 1-line block ×8, first 2 shown]
	v_add_f64_e64 v[172:173], v[144:145], -v[132:133]
	v_add_f64_e32 v[126:127], v[126:127], v[146:147]
	v_add_f64_e32 v[24:25], v[54:55], v[24:25]
	;; [unrolled: 1-line block ×3, first 2 shown]
	v_fma_f64 v[152:153], v[32:33], s[14:15], v[152:153]
	v_fma_f64 v[32:33], v[32:33], s[12:13], v[60:61]
	v_add_f64_e32 v[60:61], v[22:23], v[6:7]
	v_add_f64_e32 v[14:15], v[66:67], v[14:15]
	v_fma_f64 v[136:137], v[81:82], s[14:15], v[136:137]
	v_fma_f64 v[64:65], v[81:82], s[12:13], v[64:65]
	v_add_f64_e32 v[81:82], v[110:111], v[2:3]
	v_add_f64_e64 v[66:67], v[128:129], -v[132:133]
	v_fma_f64 v[72:73], v[150:151], s[18:19], v[164:165]
	v_add_f64_e32 v[235:236], v[235:236], v[144:145]
	v_fma_f64 v[164:165], v[150:151], s[0:1], v[164:165]
	v_add_f64_e32 v[10:11], v[58:59], v[10:11]
	v_fma_f64 v[231:232], v[52:53], s[14:15], v[231:232]
	v_fma_f64 v[52:53], v[52:53], s[12:13], v[176:177]
	v_add_f64_e64 v[176:177], v[156:157], -v[144:145]
	v_add_f64_e64 v[144:145], v[144:145], -v[156:157]
	;; [unrolled: 1-line block ×3, first 2 shown]
	v_fma_f64 v[56:57], v[178:179], s[14:15], v[56:57]
	v_fma_f64 v[174:175], v[178:179], s[12:13], v[174:175]
	;; [unrolled: 1-line block ×9, first 2 shown]
	v_fma_f64 v[60:61], v[60:61], -0.5, v[148:149]
	v_fma_f64 v[32:33], v[90:91], s[20:21], v[32:33]
	v_add_f64_e64 v[58:59], v[132:133], -v[128:129]
	v_fma_f64 v[64:65], v[86:87], s[20:21], v[64:65]
	v_fma_f64 v[81:82], v[81:82], -0.5, v[148:149]
	v_add_f64_e32 v[148:149], v[148:149], v[110:111]
	v_add_f64_e64 v[110:111], v[110:111], -v[2:3]
	v_fma_f64 v[72:73], v[108:109], s[12:13], v[72:73]
	v_fma_f64 v[231:232], v[94:95], s[20:21], v[231:232]
	;; [unrolled: 1-line block ×3, first 2 shown]
	v_add_f64_e32 v[94:95], v[30:31], v[42:43]
	v_add_f64_e32 v[66:67], v[176:177], v[66:67]
	v_fma_f64 v[146:147], v[156:157], s[18:19], v[227:228]
	v_fma_f64 v[227:228], v[156:157], s[0:1], v[227:228]
	;; [unrolled: 1-line block ×8, first 2 shown]
	v_add_f64_e32 v[58:59], v[144:145], v[58:59]
	v_fma_f64 v[54:55], v[38:39], s[18:19], v[81:82]
	v_fma_f64 v[81:82], v[38:39], s[0:1], v[81:82]
	;; [unrolled: 1-line block ×4, first 2 shown]
	v_add_f64_e32 v[22:23], v[148:149], v[22:23]
	v_add_f64_e64 v[148:149], v[42:43], -v[20:21]
	v_fma_f64 v[146:147], v[172:173], s[14:15], v[146:147]
	v_fma_f64 v[172:173], v[172:173], s[12:13], v[227:228]
	;; [unrolled: 1-line block ×10, first 2 shown]
	v_add_f64_e32 v[104:105], v[48:49], v[4:5]
	v_fma_f64 v[142:143], v[28:29], s[14:15], v[142:143]
	v_fma_f64 v[180:181], v[28:29], s[12:13], v[180:181]
	v_add_f64_e32 v[6:7], v[22:23], v[6:7]
	v_fma_f64 v[146:147], v[102:103], s[20:21], v[146:147]
	v_fma_f64 v[102:103], v[102:103], s[20:21], v[172:173]
	v_fma_f64 v[222:223], v[168:169], s[20:21], v[223:224]
	v_fma_f64 v[110:111], v[168:169], s[20:21], v[110:111]
	v_fma_f64 v[225:226], v[38:39], s[12:13], v[225:226]
	v_fma_f64 v[38:39], v[38:39], s[14:15], v[60:61]
	v_add_f64_e32 v[60:61], v[18:19], v[8:9]
	v_fma_f64 v[54:55], v[229:230], s[20:21], v[54:55]
	v_fma_f64 v[81:82], v[229:230], s[20:21], v[81:82]
	v_fma_f64 v[104:105], v[104:105], -0.5, v[50:51]
	v_fma_f64 v[142:143], v[114:115], s[20:21], v[142:143]
	v_fma_f64 v[114:115], v[114:115], s[20:21], v[180:181]
	v_add_f64_e32 v[6:7], v[6:7], v[2:3]
	v_fma_f64 v[225:226], v[118:119], s[20:21], v[225:226]
	v_fma_f64 v[38:39], v[118:119], s[20:21], v[38:39]
	v_fma_f64 v[60:61], v[60:61], -0.5, v[50:51]
	v_add_f64_e32 v[50:51], v[50:51], v[48:49]
	v_add_f64_e64 v[48:49], v[48:49], -v[4:5]
	v_fma_f64 v[227:228], v[62:63], s[18:19], v[104:105]
	v_fma_f64 v[104:105], v[62:63], s[0:1], v[104:105]
	v_mul_f64_e32 v[168:169], s[14:15], v[225:226]
	v_mul_f64_e32 v[180:181], s[14:15], v[38:39]
	v_fma_f64 v[28:29], v[34:35], s[0:1], v[60:61]
	v_fma_f64 v[60:61], v[34:35], s[18:19], v[60:61]
	;; [unrolled: 1-line block ×4, first 2 shown]
	v_mul_f64_e32 v[22:23], s[22:23], v[225:226]
	v_mul_f64_e32 v[38:39], s[24:25], v[38:39]
	v_fma_f64 v[227:228], v[34:35], s[12:13], v[227:228]
	v_fma_f64 v[34:35], v[34:35], s[14:15], v[104:105]
	v_add_f64_e64 v[104:105], v[20:21], -v[12:13]
	v_fma_f64 v[168:169], v[142:143], s[22:23], v[168:169]
	v_fma_f64 v[172:173], v[114:115], s[24:25], v[180:181]
	;; [unrolled: 1-line block ×4, first 2 shown]
	v_add_f64_e64 v[62:63], v[42:43], -v[0:1]
	v_add3_u32 v28, 0, v83, v241
	v_add_f64_e64 v[241:242], v[18:19], -v[8:9]
	v_add_f64_e32 v[180:181], v[126:127], v[70:71]
	v_add_f64_e64 v[70:71], v[126:127], -v[70:71]
	v_add_f64_e32 v[18:19], v[50:51], v[18:19]
	v_fma_f64 v[50:51], v[36:37], s[18:19], v[140:141]
	v_fma_f64 v[34:35], v[100:101], s[20:21], v[34:35]
	;; [unrolled: 1-line block ×4, first 2 shown]
	v_add_f64_e32 v[126:127], v[122:123], v[24:25]
	v_add_f64_e64 v[24:25], v[122:123], -v[24:25]
	v_add_f64_e64 v[122:123], v[0:1], -v[12:13]
	v_fma_f64 v[38:39], v[114:115], s[12:13], v[38:39]
	v_fma_f64 v[90:91], v[68:69], s[20:21], v[187:188]
	;; [unrolled: 1-line block ×10, first 2 shown]
	v_mul_f64_e32 v[68:69], s[18:19], v[162:163]
	v_fma_f64 v[79:80], v[62:63], s[14:15], v[79:80]
	v_fma_f64 v[62:63], v[62:63], s[12:13], v[77:78]
	v_fma_f64 v[77:78], v[86:87], s[20:21], v[136:137]
	v_mul_f64_e32 v[136:137], s[14:15], v[166:167]
	v_mul_f64_e32 v[100:101], s[18:19], v[44:45]
	;; [unrolled: 1-line block ×3, first 2 shown]
	v_add_f64_e32 v[241:242], v[42:43], v[0:1]
	v_mul_f64_e32 v[86:87], s[14:15], v[75:76]
	v_add_f64_e64 v[42:43], v[20:21], -v[42:43]
	v_mul_f64_e32 v[166:167], s[22:23], v[166:167]
	v_mul_f64_e32 v[44:45], s[26:27], v[44:45]
	v_fma_f64 v[50:51], v[154:155], s[14:15], v[50:51]
	v_mul_f64_e32 v[54:55], s[20:21], v[54:55]
	v_add_f64_e32 v[8:9], v[18:19], v[8:9]
	v_mul_f64_e32 v[178:179], s[18:19], v[187:188]
	v_fma_f64 v[106:107], v[104:105], s[14:15], v[106:107]
	v_fma_f64 v[104:105], v[104:105], s[12:13], v[239:240]
	;; [unrolled: 1-line block ×4, first 2 shown]
	v_add_f64_e32 v[96:97], v[20:21], v[12:13]
	v_mul_f64_e32 v[239:240], s[18:19], v[81:82]
	v_fma_f64 v[118:119], v[237:238], s[20:21], v[118:119]
	v_fma_f64 v[88:89], v[237:238], s[20:21], v[88:89]
	v_mul_f64_e32 v[237:238], s[14:15], v[60:61]
	v_fma_f64 v[68:69], v[152:153], s[20:21], v[68:69]
	v_add_f64_e32 v[20:21], v[94:95], v[20:21]
	v_fma_f64 v[136:137], v[77:78], s[22:23], v[136:137]
	v_fma_f64 v[100:101], v[32:33], s[26:27], v[100:101]
	v_fma_f64 v[227:228], v[222:223], s[20:21], v[227:228]
	v_add_f64_e64 v[94:95], v[134:135], -v[130:131]
	v_fma_f64 v[86:87], v[64:65], s[24:25], v[86:87]
	v_fma_f64 v[79:80], v[84:85], s[20:21], v[79:80]
	;; [unrolled: 1-line block ×3, first 2 shown]
	v_add_f64_e32 v[134:135], v[14:15], v[10:11]
	v_add_f64_e64 v[10:11], v[14:15], -v[10:11]
	v_mul_f64_e32 v[81:82], s[26:27], v[81:82]
	v_mul_f64_e32 v[60:61], s[24:25], v[60:61]
	v_fma_f64 v[54:55], v[222:223], s[0:1], v[54:55]
	v_add_f64_e32 v[4:5], v[8:9], v[4:5]
	v_fma_f64 v[106:107], v[233:234], s[20:21], v[106:107]
	v_fma_f64 v[83:84], v[233:234], s[20:21], v[104:105]
	;; [unrolled: 1-line block ×4, first 2 shown]
	v_mul_f64_e32 v[229:230], s[18:19], v[34:35]
	v_fma_f64 v[96:97], v[96:97], -0.5, v[30:31]
	v_fma_f64 v[29:30], v[241:242], -0.5, v[30:31]
	v_mul_f64_e32 v[92:93], s[14:15], v[90:91]
	v_fma_f64 v[239:240], v[110:111], s[26:27], v[239:240]
	v_add_f64_e32 v[233:234], v[231:232], v[68:69]
	v_add_f64_e64 v[68:69], v[231:232], -v[68:69]
	v_add_f64_e32 v[241:242], v[56:57], v[136:137]
	v_add_f64_e64 v[56:57], v[56:57], -v[136:137]
	v_mul_f64_e32 v[34:35], s[26:27], v[34:35]
	v_fma_f64 v[31:32], v[32:33], s[0:1], v[44:45]
	v_add_f64_e32 v[136:137], v[98:99], v[86:87]
	v_add_f64_e64 v[85:86], v[98:99], -v[86:87]
	v_add_f64_e32 v[98:99], v[146:147], v[168:169]
	v_add_f64_e64 v[146:147], v[146:147], -v[168:169]
	;; [unrolled: 2-line block ×3, first 2 shown]
	v_fma_f64 v[44:45], v[116:117], s[20:21], v[50:51]
	v_fma_f64 v[104:105], v[156:157], s[20:21], v[178:179]
	;; [unrolled: 1-line block ×4, first 2 shown]
	v_add_f64_e32 v[237:238], v[52:53], v[100:101]
	v_add_f64_e64 v[52:53], v[52:53], -v[100:101]
	v_add_f64_e32 v[100:101], v[174:175], v[227:228]
	v_add_f64_e64 v[174:175], v[174:175], -v[227:228]
	v_fma_f64 v[227:228], v[36:37], s[0:1], v[140:141]
	ds_store_2addr_b64 v74, v[180:181], v[241:242] offset1:3
	v_fma_f64 v[180:181], v[154:155], s[18:19], v[170:171]
	v_fma_f64 v[170:171], v[154:155], s[0:1], v[170:171]
	;; [unrolled: 1-line block ×4, first 2 shown]
	v_add_f64_e32 v[231:232], v[138:139], v[239:240]
	v_fma_f64 v[124:125], v[108:109], s[18:19], v[124:125]
	v_add_f64_e64 v[241:242], v[12:13], -v[0:1]
	v_fma_f64 v[14:15], v[46:47], s[0:1], v[96:97]
	v_fma_f64 v[96:97], v[46:47], s[18:19], v[96:97]
	v_add_f64_e64 v[138:139], v[138:139], -v[239:240]
	v_fma_f64 v[239:240], v[40:41], s[18:19], v[29:30]
	v_fma_f64 v[29:30], v[40:41], s[0:1], v[29:30]
	ds_store_2addr_b64 v74, v[233:234], v[237:238] offset0:6 offset1:9
	ds_store_2addr_b64 v74, v[136:137], v[70:71] offset0:12 offset1:15
	;; [unrolled: 1-line block ×4, first 2 shown]
	ds_store_2addr_b64 v28, v[126:127], v[98:99] offset1:3
	ds_store_2addr_b64 v28, v[100:101], v[231:232] offset0:6 offset1:9
	ds_store_2addr_b64 v28, v[168:169], v[24:25] offset0:12 offset1:15
	;; [unrolled: 1-line block ×3, first 2 shown]
	v_fma_f64 v[24:25], v[154:155], s[12:13], v[227:228]
	v_add_f64_e32 v[52:53], v[158:159], v[94:95]
	v_fma_f64 v[56:57], v[36:37], s[12:13], v[180:181]
	v_fma_f64 v[36:37], v[36:37], s[14:15], v[170:171]
	v_mul_f64_e32 v[68:69], s[20:21], v[162:163]
	v_add_f64_e32 v[172:173], v[106:107], v[92:93]
	v_mul_f64_e32 v[70:71], s[24:25], v[75:76]
	v_add_f64_e64 v[92:93], v[106:107], -v[92:93]
	v_add_f64_e32 v[106:107], v[79:80], v[104:105]
	v_add_f64_e64 v[79:80], v[79:80], -v[104:105]
	v_add_f64_e32 v[104:105], v[62:63], v[178:179]
	v_fma_f64 v[75:76], v[150:151], s[12:13], v[140:141]
	v_add_f64_e32 v[94:95], v[235:236], v[132:133]
	v_add_f64_e64 v[62:63], v[62:63], -v[178:179]
	v_add_f64_e32 v[178:179], v[83:84], v[229:230]
	v_add_f64_e64 v[83:84], v[83:84], -v[229:230]
	v_fma_f64 v[85:86], v[150:151], s[14:15], v[124:125]
	v_fma_f64 v[98:99], v[108:109], s[14:15], v[164:165]
	v_add_f64_e32 v[100:101], v[148:149], v[122:123]
	v_fma_f64 v[14:15], v[40:41], s[12:13], v[14:15]
	v_add_f64_e32 v[12:13], v[20:21], v[12:13]
	;; [unrolled: 2-line block ×3, first 2 shown]
	v_fma_f64 v[42:43], v[46:47], s[12:13], v[239:240]
	v_fma_f64 v[18:19], v[46:47], s[14:15], v[29:30]
	v_mul_f64_e32 v[29:30], s[22:23], v[90:91]
	v_mul_f64_e32 v[46:47], s[20:21], v[187:188]
	ds_store_2addr_b64 v28, v[138:139], v[102:103] offset0:24 offset1:27
	ds_store_2addr_b64 v189, v[134:135], v[172:173] offset1:3
	ds_store_2addr_b64 v189, v[106:107], v[104:105] offset0:6 offset1:9
	ds_store_2addr_b64 v189, v[178:179], v[10:11] offset0:12 offset1:15
	;; [unrolled: 1-line block ×4, first 2 shown]
	v_add_f64_e32 v[10:11], v[26:27], v[16:17]
	v_fma_f64 v[16:17], v[77:78], s[12:13], v[166:167]
	v_add_f64_e32 v[26:27], v[112:113], v[130:131]
	v_fma_f64 v[24:25], v[116:117], s[20:21], v[24:25]
	v_fma_f64 v[56:57], v[52:53], s[20:21], v[56:57]
	;; [unrolled: 1-line block ×5, first 2 shown]
	v_add_f64_e32 v[62:63], v[94:95], v[128:129]
	v_fma_f64 v[64:65], v[66:67], s[20:21], v[75:76]
	v_fma_f64 v[70:71], v[142:143], s[12:13], v[22:23]
	;; [unrolled: 1-line block ×6, first 2 shown]
	v_add_f64_e32 v[12:13], v[12:13], v[0:1]
	v_fma_f64 v[14:15], v[100:101], s[20:21], v[14:15]
	v_fma_f64 v[75:76], v[100:101], s[20:21], v[20:21]
	;; [unrolled: 1-line block ×8, first 2 shown]
	global_wb scope:SCOPE_SE
	s_wait_dscnt 0x0
	s_barrier_signal -1
	s_barrier_wait -1
	global_inv scope:SCOPE_SE
	ds_load_b64 v[140:141], v220
	ds_load_b64 v[148:149], v221
	;; [unrolled: 1-line block ×6, first 2 shown]
	ds_load_2addr_b64 v[104:107], v202 offset0:56 offset1:146
	ds_load_2addr_b64 v[20:23], v205 offset0:108 offset1:198
	;; [unrolled: 1-line block ×4, first 2 shown]
	v_add_f64_e32 v[46:47], v[26:27], v[10:11]
	v_add_f64_e32 v[48:49], v[24:25], v[16:17]
	v_add_f64_e64 v[83:84], v[24:25], -v[16:17]
	v_add_f64_e32 v[77:78], v[36:37], v[31:32]
	v_add_f64_e32 v[60:61], v[56:57], v[52:53]
	v_add_f64_e64 v[52:53], v[56:57], -v[52:53]
	v_add_f64_e64 v[31:32], v[36:37], -v[31:32]
	;; [unrolled: 1-line block ×4, first 2 shown]
	v_add_f64_e32 v[81:82], v[44:45], v[50:51]
	v_add_f64_e32 v[44:45], v[62:63], v[6:7]
	;; [unrolled: 1-line block ×3, first 2 shown]
	v_add_f64_e64 v[50:51], v[62:63], -v[6:7]
	v_add_f64_e64 v[62:63], v[64:65], -v[70:71]
	v_add_f64_e32 v[64:65], v[68:69], v[54:55]
	v_add_f64_e64 v[54:55], v[68:69], -v[54:55]
	v_add_f64_e32 v[68:69], v[58:59], v[72:73]
	;; [unrolled: 2-line block ×5, first 2 shown]
	v_add_f64_e32 v[87:88], v[42:43], v[29:30]
	v_add_f64_e32 v[91:92], v[75:76], v[40:41]
	v_add_f64_e64 v[93:94], v[14:15], -v[18:19]
	v_add_f64_e64 v[29:30], v[42:43], -v[29:30]
	v_add_f64_e32 v[89:90], v[8:9], v[33:34]
	v_add_f64_e64 v[33:34], v[8:9], -v[33:34]
	v_add_f64_e64 v[39:40], v[75:76], -v[40:41]
	v_mul_lo_u16 v41, 0x89, v184
	v_mul_lo_u16 v42, 0x89, v185
	ds_load_2addr_b64 v[112:115], v210 offset0:112 offset1:202
	ds_load_2addr_b64 v[8:11], v211 offset0:36 offset1:126
	;; [unrolled: 1-line block ×8, first 2 shown]
	global_wb scope:SCOPE_SE
	s_wait_dscnt 0x0
	s_barrier_signal -1
	v_lshrrev_b16 v225, 12, v41
	v_lshrrev_b16 v222, 12, v42
	s_barrier_wait -1
	global_inv scope:SCOPE_SE
	ds_store_2addr_b64 v74, v[46:47], v[48:49] offset1:3
	ds_store_2addr_b64 v74, v[60:61], v[77:78] offset0:6 offset1:9
	ds_store_2addr_b64 v74, v[81:82], v[79:80] offset0:12 offset1:15
	v_mul_lo_u16 v41, v225, 30
	ds_store_2addr_b64 v74, v[83:84], v[52:53] offset0:18 offset1:21
	ds_store_2addr_b64 v74, v[31:32], v[35:36] offset0:24 offset1:27
	ds_store_2addr_b64 v28, v[44:45], v[56:57] offset1:3
	v_mul_lo_u16 v31, v222, 30
	ds_store_2addr_b64 v28, v[64:65], v[68:69] offset0:6 offset1:9
	ds_store_2addr_b64 v28, v[70:71], v[50:51] offset0:12 offset1:15
	ds_store_2addr_b64 v28, v[62:63], v[54:55] offset0:18 offset1:21
	v_sub_nc_u16 v32, v196, v41
	v_sub_nc_u16 v31, v217, v31
	ds_store_2addr_b64 v28, v[58:59], v[37:38] offset0:24 offset1:27
	ds_store_2addr_b64 v189, v[66:67], v[85:86] offset1:3
	ds_store_2addr_b64 v189, v[87:88], v[89:90] offset0:6 offset1:9
	v_and_b32_e32 v224, 0xff, v32
	v_and_b32_e32 v223, 0xff, v31
	ds_store_2addr_b64 v189, v[91:92], v[72:73] offset0:12 offset1:15
	ds_store_2addr_b64 v189, v[93:94], v[29:30] offset0:18 offset1:21
	;; [unrolled: 1-line block ×3, first 2 shown]
	global_wb scope:SCOPE_SE
	s_wait_dscnt 0x0
	v_mul_u32_u24_e32 v28, 9, v224
	v_mul_u32_u24_e32 v29, 9, v223
	s_barrier_signal -1
	s_barrier_wait -1
	global_inv scope:SCOPE_SE
	v_lshlrev_b32_e32 v64, 4, v28
	v_lshlrev_b32_e32 v65, 4, v29
	s_clause 0x3
	global_load_b128 v[116:119], v64, s[8:9] offset:480
	global_load_b128 v[128:131], v65, s[8:9] offset:480
	;; [unrolled: 1-line block ×4, first 2 shown]
	v_mul_u32_u24_e32 v28, 0x8889, v186
	s_clause 0x2
	global_load_b128 v[168:171], v64, s[8:9] offset:544
	global_load_b128 v[186:189], v65, s[8:9] offset:432
	;; [unrolled: 1-line block ×3, first 2 shown]
	v_and_b32_e32 v225, 0xffff, v225
	v_lshrrev_b32_e32 v226, 20, v28
	v_and_b32_e32 v222, 0xffff, v222
	v_lshlrev_b32_e32 v223, 3, v223
	s_delay_alu instid0(VALU_DEP_3) | instskip(NEXT) | instid1(VALU_DEP_3)
	v_mul_lo_u16 v28, v226, 30
	v_mul_u32_u24_e32 v222, 0x960, v222
	s_delay_alu instid0(VALU_DEP_2) | instskip(NEXT) | instid1(VALU_DEP_1)
	v_sub_nc_u16 v28, v218, v28
	v_and_b32_e32 v227, 0xffff, v28
	s_delay_alu instid0(VALU_DEP_1) | instskip(NEXT) | instid1(VALU_DEP_1)
	v_mul_u32_u24_e32 v28, 9, v227
	v_lshlrev_b32_e32 v88, 4, v28
	s_clause 0x13
	global_load_b128 v[228:231], v88, s[8:9] offset:432
	global_load_b128 v[232:235], v65, s[8:9] offset:448
	;; [unrolled: 1-line block ×20, first 2 shown]
	ds_load_2addr_b64 v[150:153], v202 offset0:56 offset1:146
	ds_load_2addr_b64 v[172:175], v209 offset0:84 offset1:174
	;; [unrolled: 1-line block ×5, first 2 shown]
	s_wait_loadcnt_dscnt 0x1a04
	v_mul_f64_e32 v[136:137], v[150:151], v[118:119]
	s_wait_loadcnt 0x19
	v_mul_f64_e32 v[142:143], v[152:153], v[130:131]
	v_mul_f64_e32 v[130:131], v[106:107], v[130:131]
	;; [unrolled: 1-line block ×3, first 2 shown]
	s_wait_loadcnt_dscnt 0x1803
	v_mul_f64_e32 v[158:159], v[172:173], v[134:135]
	s_wait_loadcnt 0x17
	v_mul_f64_e32 v[164:165], v[174:175], v[146:147]
	v_mul_f64_e32 v[146:147], v[98:99], v[146:147]
	;; [unrolled: 1-line block ×3, first 2 shown]
	s_wait_loadcnt 0x10
	v_mul_f64_e32 v[184:185], v[24:25], v[42:43]
	s_wait_loadcnt 0xf
	v_mul_f64_e32 v[180:181], v[26:27], v[46:47]
	v_fma_f64 v[156:157], v[104:105], v[116:117], v[136:137]
	v_fma_f64 v[154:155], v[106:107], v[128:129], v[142:143]
	s_wait_dscnt 0x2
	v_mul_f64_e32 v[104:105], v[240:241], v[170:171]
	v_mul_f64_e32 v[106:107], v[112:113], v[170:171]
	v_fma_f64 v[142:143], v[152:153], v[128:129], -v[130:131]
	v_mul_f64_e32 v[136:137], v[242:243], v[178:179]
	v_mul_f64_e32 v[152:153], v[114:115], v[178:179]
	s_wait_dscnt 0x1
	v_mul_f64_e32 v[170:171], v[244:245], v[188:189]
	v_fma_f64 v[166:167], v[150:151], v[116:117], -v[118:119]
	v_fma_f64 v[162:163], v[96:97], v[132:133], v[158:159]
	v_mul_f64_e32 v[96:97], v[108:109], v[188:189]
	v_fma_f64 v[158:159], v[98:99], v[144:145], v[164:165]
	ds_load_2addr_b64 v[116:119], v213 offset0:132 offset1:222
	v_mul_f64_e32 v[98:99], v[246:247], v[230:231]
	v_fma_f64 v[130:131], v[174:175], v[144:145], -v[146:147]
	v_mul_f64_e32 v[144:145], v[110:111], v[230:231]
	s_wait_dscnt 0x1
	v_mul_f64_e32 v[146:147], v[248:249], v[234:235]
	v_mul_f64_e32 v[230:231], v[250:251], v[238:239]
	ds_load_b64 v[174:175], v221
	v_fma_f64 v[132:133], v[172:173], v[132:133], -v[134:135]
	v_mul_f64_e32 v[188:189], v[100:101], v[234:235]
	v_mul_f64_e32 v[234:235], v[102:103], v[238:239]
	s_wait_dscnt 0x1
	v_mul_f64_e32 v[172:173], v[116:117], v[42:43]
	v_mul_f64_e32 v[182:183], v[118:119], v[46:47]
	v_fma_f64 v[150:151], v[112:113], v[168:169], v[104:105]
	v_fma_f64 v[128:129], v[240:241], v[168:169], -v[106:107]
	ds_load_2addr_b64 v[104:107], v205 offset0:108 offset1:198
	v_fma_f64 v[134:135], v[114:115], v[176:177], v[136:137]
	v_fma_f64 v[42:43], v[242:243], v[176:177], -v[152:153]
	v_fma_f64 v[168:169], v[108:109], v[186:187], v[170:171]
	ds_load_b64 v[170:171], v220
	s_wait_loadcnt_dscnt 0xe02
	v_mul_f64_e32 v[178:179], v[174:175], v[50:51]
	v_mul_f64_e32 v[176:177], v[148:149], v[50:51]
	v_fma_f64 v[152:153], v[244:245], v[186:187], -v[96:97]
	v_fma_f64 v[164:165], v[110:111], v[228:229], v[98:99]
	ds_load_2addr_b64 v[108:111], v214 offset0:160 offset1:250
	ds_load_2addr_b64 v[96:99], v211 offset0:36 offset1:126
	v_fma_f64 v[144:145], v[246:247], v[228:229], -v[144:145]
	v_fma_f64 v[136:137], v[100:101], v[232:233], v[146:147]
	ds_load_2addr_b64 v[112:115], v207 offset0:8 offset1:98
	v_fma_f64 v[50:51], v[102:103], v[236:237], v[230:231]
	ds_load_2addr_b64 v[100:103], v215 offset0:60 offset1:150
	ds_load_2addr_b64 v[228:231], v216 offset0:88 offset1:178
	v_fma_f64 v[146:147], v[248:249], v[232:233], -v[188:189]
	s_wait_loadcnt 0xd
	v_mul_f64_e32 v[188:189], v[22:23], v[38:39]
	v_fma_f64 v[46:47], v[250:251], v[236:237], -v[234:235]
	s_wait_dscnt 0x6
	v_mul_f64_e32 v[186:187], v[106:107], v[38:39]
	s_wait_loadcnt 0xc
	v_mul_f64_e32 v[232:233], v[104:105], v[30:31]
	v_fma_f64 v[172:173], v[24:25], v[40:41], v[172:173]
	v_fma_f64 v[40:41], v[116:117], v[40:41], -v[184:185]
	s_wait_loadcnt_dscnt 0xb04
	v_mul_f64_e32 v[24:25], v[108:109], v[34:35]
	v_mul_f64_e32 v[184:185], v[16:17], v[34:35]
	v_fma_f64 v[38:39], v[26:27], v[44:45], v[182:183]
	s_wait_loadcnt_dscnt 0xa03
	v_mul_f64_e32 v[26:27], v[98:99], v[58:59]
	v_mul_f64_e32 v[58:59], v[10:11], v[58:59]
	v_fma_f64 v[34:35], v[118:119], v[44:45], -v[180:181]
	s_wait_loadcnt_dscnt 0x902
	v_mul_f64_e32 v[118:119], v[114:115], v[54:55]
	v_mul_f64_e32 v[54:55], v[2:3], v[54:55]
	s_wait_loadcnt_dscnt 0x801
	v_mul_f64_e32 v[180:181], v[100:101], v[62:63]
	v_mul_f64_e32 v[182:183], v[12:13], v[62:63]
	v_fma_f64 v[62:63], v[148:149], v[48:49], v[178:179]
	s_wait_loadcnt_dscnt 0x700
	v_mul_f64_e32 v[148:149], v[228:229], v[94:95]
	v_fma_f64 v[116:117], v[174:175], v[48:49], -v[176:177]
	v_mul_f64_e32 v[174:175], v[4:5], v[94:95]
	s_wait_loadcnt 0x6
	v_mul_f64_e32 v[176:177], v[170:171], v[74:75]
	ds_load_b64 v[178:179], v219
	v_fma_f64 v[106:107], v[106:107], v[36:37], -v[188:189]
	s_wait_loadcnt 0x5
	v_mul_f64_e32 v[188:189], v[110:111], v[86:87]
	v_fma_f64 v[94:95], v[22:23], v[36:37], v[186:187]
	v_mul_f64_e32 v[186:187], v[20:21], v[30:31]
	v_fma_f64 v[44:45], v[20:21], v[28:29], v[232:233]
	;; [unrolled: 2-line block ×3, first 2 shown]
	ds_load_b64 v[24:25], v212
	v_fma_f64 v[22:23], v[108:109], v[32:33], -v[184:185]
	s_wait_loadcnt_dscnt 0x401
	v_mul_f64_e32 v[16:17], v[178:179], v[82:83]
	v_mul_f64_e32 v[82:83], v[138:139], v[82:83]
	v_fma_f64 v[32:33], v[10:11], v[56:57], v[26:27]
	v_fma_f64 v[10:11], v[98:99], v[56:57], -v[58:59]
	s_wait_loadcnt 0x3
	v_mul_f64_e32 v[98:99], v[112:113], v[78:79]
	v_mul_f64_e32 v[78:79], v[0:1], v[78:79]
	v_fma_f64 v[58:59], v[2:3], v[52:53], v[118:119]
	v_fma_f64 v[20:21], v[114:115], v[52:53], -v[54:55]
	v_mul_f64_e32 v[52:53], v[140:141], v[74:75]
	s_wait_loadcnt 0x2
	v_mul_f64_e32 v[54:55], v[102:103], v[70:71]
	v_fma_f64 v[56:57], v[12:13], v[60:61], v[180:181]
	v_fma_f64 v[12:13], v[100:101], v[60:61], -v[182:183]
	v_mul_f64_e32 v[60:61], v[14:15], v[70:71]
	s_wait_loadcnt 0x1
	v_mul_f64_e32 v[74:75], v[96:97], v[66:67]
	v_fma_f64 v[30:31], v[4:5], v[92:93], v[148:149]
	v_fma_f64 v[2:3], v[228:229], v[92:93], -v[174:175]
	s_wait_loadcnt 0x0
	v_mul_f64_e32 v[4:5], v[230:231], v[90:91]
	v_mul_f64_e32 v[90:91], v[6:7], v[90:91]
	v_fma_f64 v[36:37], v[140:141], v[72:73], v[176:177]
	v_mul_f64_e32 v[92:93], v[8:9], v[66:67]
	v_add_f64_e64 v[108:109], v[134:135], -v[158:159]
	v_add_f64_e64 v[140:141], v[158:159], -v[134:135]
	v_add_f64_e32 v[148:149], v[156:157], v[162:163]
	ds_load_b64 v[100:101], v201
	v_fma_f64 v[66:67], v[18:19], v[84:85], v[188:189]
	v_fma_f64 v[26:27], v[104:105], v[28:29], -v[186:187]
	v_add_f64_e64 v[104:105], v[136:137], -v[154:155]
	v_fma_f64 v[18:19], v[110:111], v[84:85], -v[86:87]
	v_add_f64_e64 v[182:183], v[50:51], -v[44:45]
	v_add_f64_e64 v[238:239], v[44:45], -v[50:51]
	;; [unrolled: 1-line block ×5, first 2 shown]
	v_fma_f64 v[84:85], v[138:139], v[80:81], v[16:17]
	v_fma_f64 v[80:81], v[178:179], v[80:81], -v[82:83]
	v_add_f64_e64 v[138:139], v[154:155], -v[136:137]
	v_add_f64_e64 v[178:179], v[22:23], -v[40:41]
	v_fma_f64 v[70:71], v[0:1], v[76:77], v[98:99]
	v_fma_f64 v[16:17], v[112:113], v[76:77], -v[78:79]
	v_add_f64_e32 v[82:83], v[94:95], v[58:59]
	v_add_f64_e64 v[76:77], v[10:11], -v[20:21]
	v_add_f64_e64 v[98:99], v[106:107], -v[116:117]
	v_add_f64_e32 v[78:79], v[116:117], v[10:11]
	v_add_f64_e32 v[86:87], v[106:107], v[20:21]
	v_fma_f64 v[8:9], v[8:9], v[64:65], v[74:75]
	v_fma_f64 v[74:75], v[170:171], v[72:73], -v[52:53]
	v_fma_f64 v[72:73], v[14:15], v[68:69], v[54:55]
	v_fma_f64 v[14:15], v[6:7], v[88:89], v[4:5]
	v_fma_f64 v[6:7], v[102:103], v[68:69], -v[60:61]
	v_fma_f64 v[0:1], v[230:231], v[88:89], -v[90:91]
	;; [unrolled: 1-line block ×3, first 2 shown]
	v_add_f64_e32 v[52:53], v[62:63], v[32:33]
	v_add_f64_e64 v[28:29], v[36:37], -v[156:157]
	v_add_f64_e64 v[54:55], v[150:151], -v[162:163]
	;; [unrolled: 1-line block ×12, first 2 shown]
	v_add_f64_e32 v[170:171], v[36:37], v[150:151]
	v_add_f64_e64 v[176:177], v[56:57], -v[30:31]
	v_add_f64_e64 v[180:181], v[12:13], -v[2:3]
	;; [unrolled: 1-line block ×5, first 2 shown]
	v_add_f64_e32 v[186:187], v[80:81], v[116:117]
	v_add_f64_e64 v[242:243], v[18:19], -v[34:35]
	v_add_f64_e64 v[116:117], v[116:117], -v[10:11]
	v_fma_f64 v[246:247], v[78:79], -0.5, v[80:81]
	v_fma_f64 v[86:87], v[86:87], -0.5, v[80:81]
	v_add_f64_e32 v[80:81], v[138:139], v[140:141]
	v_fma_f64 v[138:139], v[148:149], -0.5, v[126:127]
	v_add_f64_e64 v[184:185], v[8:9], -v[70:71]
	v_add_f64_e64 v[248:249], v[74:75], -v[166:167]
	;; [unrolled: 1-line block ×6, first 2 shown]
	v_add_f64_e32 v[28:29], v[28:29], v[54:55]
	v_add_f64_e32 v[60:61], v[60:61], v[64:65]
	;; [unrolled: 1-line block ×3, first 2 shown]
	v_add_f64_e64 v[68:69], v[6:7], -v[0:1]
	v_add_f64_e32 v[54:55], v[88:89], v[90:91]
	v_add_f64_e32 v[90:91], v[166:167], v[132:133]
	v_add_f64_e32 v[64:65], v[92:93], v[96:97]
	v_add_f64_e32 v[92:93], v[98:99], v[102:103]
	v_add_f64_e64 v[96:97], v[166:167], -v[74:75]
	v_add_f64_e32 v[76:77], v[104:105], v[108:109]
	v_add_f64_e32 v[98:99], v[74:75], v[128:129]
	;; [unrolled: 1-line block ×3, first 2 shown]
	v_add_f64_e64 v[104:105], v[132:133], -v[128:129]
	v_add_f64_e32 v[108:109], v[114:115], v[118:119]
	v_add_f64_e32 v[110:111], v[154:155], v[158:159]
	;; [unrolled: 1-line block ×3, first 2 shown]
	v_fma_f64 v[114:115], v[52:53], -0.5, v[84:85]
	v_fma_f64 v[118:119], v[82:83], -0.5, v[84:85]
	v_add_f64_e32 v[84:85], v[84:85], v[62:63]
	v_fma_f64 v[140:141], v[170:171], -0.5, v[126:127]
	v_add_f64_e32 v[126:127], v[126:127], v[36:37]
	v_add_f64_e32 v[170:171], v[124:125], v[136:137]
	v_add_f64_e64 v[88:89], v[128:129], -v[132:133]
	v_add_f64_e32 v[148:149], v[174:175], v[176:177]
	ds_load_b64 v[176:177], v208
	v_add_f64_e32 v[174:175], v[178:179], v[180:181]
	v_add_f64_e64 v[178:179], v[106:107], -v[20:21]
	v_add_f64_e32 v[106:107], v[186:187], v[106:107]
	v_add_f64_e32 v[78:79], v[182:183], v[184:185]
	s_wait_dscnt 0x1
	v_add_f64_e32 v[182:183], v[100:101], v[74:75]
	v_add_f64_e32 v[186:187], v[50:51], v[8:9]
	;; [unrolled: 1-line block ×9, first 2 shown]
	v_add_f64_e64 v[62:63], v[62:63], -v[32:33]
	v_add_f64_e64 v[74:75], v[74:75], -v[128:129]
	;; [unrolled: 1-line block ×3, first 2 shown]
	v_add_f64_e32 v[234:235], v[242:243], v[68:69]
	v_add_f64_e64 v[36:37], v[36:37], -v[150:151]
	v_fma_f64 v[90:91], v[90:91], -0.5, v[100:101]
	v_add_f64_e32 v[82:83], v[238:239], v[240:241]
	v_mul_u32_u24_e32 v238, 0x960, v225
	v_lshlrev_b32_e32 v239, 3, v224
	v_mul_u32_u24_e32 v240, 0x960, v226
	v_fma_f64 v[98:99], v[98:99], -0.5, v[100:101]
	v_add_f64_e32 v[100:101], v[164:165], v[38:39]
	v_add_f64_e32 v[68:69], v[96:97], v[104:105]
	v_add_f64_e32 v[96:97], v[66:67], v[72:73]
	v_fma_f64 v[104:105], v[110:111], -0.5, v[124:125]
	v_fma_f64 v[110:111], v[112:113], -0.5, v[124:125]
	v_add_f64_e32 v[112:113], v[38:39], v[14:15]
	v_add_f64_e64 v[38:39], v[38:39], -v[14:15]
	v_add_f64_e32 v[84:85], v[84:85], v[94:95]
	v_add_f64_e64 v[94:95], v[94:95], -v[58:59]
	v_add_f64_e32 v[124:125], v[126:127], v[156:157]
	v_add_f64_e32 v[126:127], v[170:171], v[154:155]
	;; [unrolled: 1-line block ×4, first 2 shown]
	v_add_f64_e64 v[156:157], v[156:157], -v[162:163]
	v_add_f64_e64 v[154:155], v[154:155], -v[158:159]
	v_add3_u32 v238, 0, v238, v239
	v_add3_u32 v239, 0, v222, v223
	v_add_f64_e64 v[222:223], v[18:19], -v[6:7]
	v_add_f64_e32 v[170:171], v[182:183], v[166:167]
	v_add_f64_e64 v[166:167], v[166:167], -v[132:133]
	v_lshlrev_b32_e32 v241, 3, v227
	v_fma_f64 v[182:183], v[188:189], -0.5, v[168:169]
	v_add_f64_e64 v[136:137], v[136:137], -v[134:135]
	v_add_f64_e64 v[50:51], v[50:51], -v[8:9]
	v_add_f64_e32 v[188:189], v[232:233], v[48:49]
	v_fma_f64 v[232:233], v[236:237], -0.5, v[122:123]
	v_fma_f64 v[122:123], v[186:187], -0.5, v[122:123]
	v_fma_f64 v[186:187], v[178:179], s[0:1], v[114:115]
	v_fma_f64 v[114:115], v[178:179], s[18:19], v[114:115]
	v_fma_f64 v[168:169], v[228:229], -0.5, v[168:169]
	v_add_f64_e32 v[228:229], v[40:41], v[2:3]
	v_add_f64_e64 v[48:49], v[48:49], -v[56:57]
	v_add_f64_e32 v[20:21], v[106:107], v[20:21]
	v_add3_u32 v240, 0, v240, v241
	v_add_nc_u32_e32 v241, 0x400, v238
	global_wb scope:SCOPE_SE
	s_wait_dscnt 0x0
	s_barrier_signal -1
	s_barrier_wait -1
	v_add_f64_e32 v[100:101], v[100:101], v[66:67]
	v_add_f64_e64 v[66:67], v[66:67], -v[72:73]
	v_fma_f64 v[96:97], v[96:97], -0.5, v[164:165]
	global_inv scope:SCOPE_SE
	v_add_nc_u32_e32 v242, 0x400, v239
	v_fma_f64 v[112:113], v[112:113], -0.5, v[164:165]
	v_add_f64_e32 v[58:59], v[84:85], v[58:59]
	v_fma_f64 v[164:165], v[94:95], s[18:19], v[246:247]
	v_fma_f64 v[236:237], v[94:95], s[0:1], v[246:247]
	;; [unrolled: 1-line block ×4, first 2 shown]
	v_add_f64_e32 v[124:125], v[124:125], v[162:163]
	v_fma_f64 v[162:163], v[62:63], s[0:1], v[86:87]
	v_fma_f64 v[86:87], v[62:63], s[18:19], v[86:87]
	v_add_f64_e32 v[126:127], v[126:127], v[158:159]
	v_add_f64_e32 v[158:159], v[22:23], v[12:13]
	;; [unrolled: 1-line block ×3, first 2 shown]
	v_add_f64_e64 v[44:45], v[44:45], -v[70:71]
	v_add_f64_e32 v[132:133], v[170:171], v[132:133]
	v_add_f64_e32 v[56:57], v[188:189], v[56:57]
	v_add_f64_e32 v[188:189], v[142:143], v[130:131]
	v_fma_f64 v[186:187], v[116:117], s[14:15], v[186:187]
	v_fma_f64 v[114:115], v[116:117], s[12:13], v[114:115]
	v_add_f64_e32 v[116:117], v[34:35], v[0:1]
	v_fma_f64 v[228:229], v[228:229], -0.5, v[152:153]
	v_add_f64_e32 v[72:73], v[100:101], v[72:73]
	v_add_f64_e64 v[100:101], v[22:23], -v[12:13]
	v_add_f64_e32 v[32:33], v[58:59], v[32:33]
	v_fma_f64 v[164:165], v[62:63], s[12:13], v[164:165]
	v_fma_f64 v[62:63], v[62:63], s[14:15], v[236:237]
	;; [unrolled: 1-line block ×6, first 2 shown]
	v_add_f64_e32 v[178:179], v[18:19], v[6:7]
	v_fma_f64 v[162:163], v[94:95], s[12:13], v[162:163]
	v_fma_f64 v[86:87], v[94:95], s[14:15], v[86:87]
	v_fma_f64 v[94:95], v[74:75], s[18:19], v[138:139]
	v_fma_f64 v[138:139], v[74:75], s[0:1], v[138:139]
	v_fma_f64 v[158:159], v[158:159], -0.5, v[152:153]
	v_add_f64_e32 v[70:71], v[88:89], v[70:71]
	v_add_f64_e32 v[88:89], v[146:147], v[42:43]
	;; [unrolled: 1-line block ×3, first 2 shown]
	v_add_f64_e64 v[40:41], v[40:41], -v[2:3]
	v_add_f64_e32 v[124:125], v[124:125], v[150:151]
	v_fma_f64 v[188:189], v[188:189], -0.5, v[176:177]
	v_add_f64_e32 v[126:127], v[126:127], v[134:135]
	v_add_f64_e32 v[30:31], v[56:57], v[30:31]
	v_fma_f64 v[116:117], v[116:117], -0.5, v[144:145]
	v_add_f64_e32 v[14:15], v[72:73], v[14:15]
	v_fma_f64 v[164:165], v[92:93], s[20:21], v[164:165]
	v_fma_f64 v[62:63], v[92:93], s[20:21], v[62:63]
	;; [unrolled: 1-line block ×6, first 2 shown]
	v_fma_f64 v[178:179], v[178:179], -0.5, v[144:145]
	v_add_f64_e32 v[144:145], v[144:145], v[34:35]
	v_add_f64_e64 v[34:35], v[34:35], -v[0:1]
	v_fma_f64 v[94:95], v[166:167], s[14:15], v[94:95]
	v_fma_f64 v[138:139], v[166:167], s[12:13], v[138:139]
	;; [unrolled: 1-line block ×6, first 2 shown]
	v_fma_f64 v[88:89], v[88:89], -0.5, v[176:177]
	v_add_f64_e32 v[176:177], v[176:177], v[146:147]
	v_fma_f64 v[58:59], v[40:41], s[18:19], v[182:183]
	v_fma_f64 v[182:183], v[40:41], s[0:1], v[182:183]
	v_fma_f64 v[162:163], v[244:245], s[20:21], v[162:163]
	v_fma_f64 v[86:87], v[244:245], s[20:21], v[86:87]
	v_fma_f64 v[84:85], v[60:61], s[20:21], v[84:85]
	v_fma_f64 v[60:61], v[60:61], s[20:21], v[118:119]
	v_add_f64_e32 v[8:9], v[70:71], v[8:9]
	v_fma_f64 v[70:71], v[36:37], s[0:1], v[90:91]
	v_add_f64_e32 v[72:73], v[124:125], v[32:33]
	v_add_f64_e64 v[32:33], v[124:125], -v[32:33]
	v_add_f64_e32 v[124:125], v[126:127], v[30:31]
	v_add_f64_e64 v[30:31], v[126:127], -v[30:31]
	v_fma_f64 v[90:91], v[36:37], s[18:19], v[90:91]
	v_add_f64_e32 v[22:23], v[152:153], v[22:23]
	v_add_f64_e64 v[152:153], v[130:131], -v[42:43]
	v_fma_f64 v[140:141], v[40:41], s[14:15], v[140:141]
	v_fma_f64 v[40:41], v[40:41], s[12:13], v[168:169]
	;; [unrolled: 1-line block ×11, first 2 shown]
	v_add_f64_e64 v[158:159], v[142:143], -v[130:131]
	v_add_f64_e32 v[176:177], v[176:177], v[142:143]
	v_fma_f64 v[58:59], v[100:101], s[14:15], v[58:59]
	v_fma_f64 v[100:101], v[100:101], s[12:13], v[182:183]
	v_add_f64_e64 v[182:183], v[146:147], -v[142:143]
	v_add_f64_e64 v[142:143], v[142:143], -v[146:147]
	;; [unrolled: 1-line block ×3, first 2 shown]
	v_mul_f64_e32 v[118:119], s[14:15], v[86:87]
	v_fma_f64 v[28:29], v[28:29], s[20:21], v[138:139]
	v_add_f64_e32 v[18:19], v[144:145], v[18:19]
	v_fma_f64 v[144:145], v[136:137], s[0:1], v[188:189]
	v_fma_f64 v[188:189], v[136:137], s[18:19], v[188:189]
	;; [unrolled: 1-line block ×5, first 2 shown]
	v_add_f64_e32 v[12:13], v[22:23], v[12:13]
	v_fma_f64 v[140:141], v[148:149], s[20:21], v[140:141]
	v_fma_f64 v[40:41], v[148:149], s[20:21], v[40:41]
	;; [unrolled: 1-line block ×4, first 2 shown]
	v_add_f64_e64 v[116:117], v[26:27], -v[16:17]
	v_fma_f64 v[224:225], v[66:67], s[12:13], v[224:225]
	v_fma_f64 v[66:67], v[66:67], s[14:15], v[178:179]
	v_add_f64_e64 v[178:179], v[46:47], -v[4:5]
	v_fma_f64 v[166:167], v[174:175], s[20:21], v[166:167]
	v_fma_f64 v[172:173], v[174:175], s[20:21], v[172:173]
	;; [unrolled: 1-line block ×15, first 2 shown]
	v_add_f64_e32 v[6:7], v[18:19], v[6:7]
	v_fma_f64 v[88:89], v[136:137], s[14:15], v[88:89]
	v_add_f64_e32 v[2:3], v[12:13], v[2:3]
	v_fma_f64 v[168:169], v[234:235], s[20:21], v[168:169]
	v_fma_f64 v[38:39], v[234:235], s[20:21], v[38:39]
	;; [unrolled: 1-line block ×15, first 2 shown]
	v_mul_f64_e32 v[184:185], s[14:15], v[162:163]
	v_mul_f64_e32 v[186:187], s[18:19], v[164:165]
	;; [unrolled: 1-line block ×3, first 2 shown]
	v_fma_f64 v[92:93], v[146:147], s[14:15], v[92:93]
	v_fma_f64 v[110:111], v[146:147], s[12:13], v[110:111]
	;; [unrolled: 1-line block ×3, first 2 shown]
	v_mul_f64_e32 v[148:149], s[14:15], v[150:151]
	v_mul_f64_e32 v[224:225], s[18:19], v[166:167]
	v_fma_f64 v[104:105], v[158:159], s[12:13], v[104:105]
	v_add_f64_e32 v[158:159], v[26:27], v[16:17]
	v_mul_f64_e32 v[228:229], s[18:19], v[172:173]
	v_mul_f64_e32 v[102:103], s[14:15], v[48:49]
	v_fma_f64 v[54:55], v[54:55], s[20:21], v[74:75]
	v_mul_f64_e32 v[162:163], s[22:23], v[162:163]
	v_mul_f64_e32 v[164:165], s[20:21], v[164:165]
	;; [unrolled: 1-line block ×4, first 2 shown]
	v_add_f64_e32 v[0:1], v[6:7], v[0:1]
	v_fma_f64 v[134:135], v[178:179], s[14:15], v[134:135]
	v_fma_f64 v[122:123], v[178:179], s[12:13], v[122:123]
	v_add_f64_e32 v[178:179], v[46:47], v[4:5]
	v_fma_f64 v[56:57], v[116:117], s[14:15], v[56:57]
	v_fma_f64 v[116:117], v[116:117], s[12:13], v[226:227]
	;; [unrolled: 3-line block ×3, first 2 shown]
	v_mul_f64_e32 v[138:139], s[14:15], v[114:115]
	v_fma_f64 v[108:109], v[230:231], s[20:21], v[174:175]
	v_fma_f64 v[96:97], v[180:181], s[20:21], v[96:97]
	v_mul_f64_e32 v[174:175], s[18:19], v[168:169]
	v_mul_f64_e32 v[180:181], s[18:19], v[38:39]
	v_fma_f64 v[184:185], v[84:85], s[22:23], v[184:185]
	v_mul_f64_e32 v[230:231], s[14:15], v[66:67]
	v_fma_f64 v[186:187], v[112:113], s[20:21], v[186:187]
	v_fma_f64 v[222:223], v[64:65], s[26:27], v[222:223]
	;; [unrolled: 1-line block ×4, first 2 shown]
	v_add_f64_e64 v[110:111], v[46:47], -v[26:27]
	v_fma_f64 v[146:147], v[76:77], s[20:21], v[146:147]
	v_fma_f64 v[148:149], v[58:59], s[22:23], v[148:149]
	;; [unrolled: 1-line block ×3, first 2 shown]
	v_add_f64_e64 v[46:47], v[26:27], -v[46:47]
	v_fma_f64 v[158:159], v[158:159], -0.5, v[24:25]
	v_fma_f64 v[228:229], v[40:41], s[26:27], v[228:229]
	v_fma_f64 v[76:77], v[76:77], s[20:21], v[104:105]
	;; [unrolled: 1-line block ×3, first 2 shown]
	v_add_f64_e64 v[104:105], v[42:43], -v[130:131]
	v_mul_f64_e32 v[18:19], s[22:23], v[114:115]
	v_mul_f64_e32 v[38:39], s[26:27], v[38:39]
	v_fma_f64 v[22:23], v[58:59], s[12:13], v[22:23]
	v_fma_f64 v[48:49], v[100:101], s[12:13], v[48:49]
	;; [unrolled: 1-line block ×4, first 2 shown]
	v_fma_f64 v[24:25], v[178:179], -0.5, v[24:25]
	v_fma_f64 v[56:57], v[78:79], s[20:21], v[56:57]
	v_fma_f64 v[78:79], v[78:79], s[20:21], v[116:117]
	v_add_f64_e32 v[26:27], v[226:227], v[26:27]
	v_fma_f64 v[226:227], v[156:157], s[18:19], v[98:99]
	v_fma_f64 v[98:99], v[156:157], s[0:1], v[98:99]
	v_add_f64_e64 v[178:179], v[4:5], -v[16:17]
	v_fma_f64 v[116:117], v[74:75], s[22:23], v[138:139]
	v_fma_f64 v[122:123], v[108:109], s[20:21], v[174:175]
	;; [unrolled: 1-line block ×3, first 2 shown]
	v_add_f64_e32 v[174:175], v[94:95], v[184:185]
	v_fma_f64 v[138:139], v[96:97], s[24:25], v[230:231]
	v_add_f64_e32 v[180:181], v[232:233], v[186:187]
	v_add_f64_e32 v[230:231], v[54:55], v[222:223]
	v_add_f64_e64 v[94:95], v[94:95], -v[184:185]
	v_add_f64_e32 v[184:185], v[28:29], v[118:119]
	v_add_f64_e64 v[186:187], v[232:233], -v[186:187]
	v_add_f64_e64 v[54:55], v[54:55], -v[222:223]
	;; [unrolled: 1-line block ×3, first 2 shown]
	v_add_f64_e32 v[118:119], v[146:147], v[148:149]
	v_add_f64_e32 v[222:223], v[92:93], v[224:225]
	v_add_f64_e64 v[92:93], v[92:93], -v[224:225]
	v_add_f64_e64 v[224:225], v[16:17], -v[4:5]
	v_fma_f64 v[170:171], v[50:51], s[0:1], v[158:159]
	v_fma_f64 v[158:159], v[50:51], s[18:19], v[158:159]
	v_add_f64_e32 v[232:233], v[80:81], v[228:229]
	v_add_f64_e64 v[146:147], v[146:147], -v[148:149]
	v_add_f64_e32 v[148:149], v[76:77], v[102:103]
	v_add_f64_e64 v[80:81], v[80:81], -v[228:229]
	v_add_f64_e64 v[76:77], v[76:77], -v[102:103]
	ds_store_2addr_b64 v238, v[72:73], v[174:175] offset1:30
	ds_store_2addr_b64 v238, v[180:181], v[230:231] offset0:60 offset1:90
	ds_store_2addr_b64 v238, v[184:185], v[32:33] offset0:120 offset1:150
	;; [unrolled: 1-line block ×4, first 2 shown]
	ds_store_2addr_b64 v239, v[124:125], v[118:119] offset1:30
	ds_store_2addr_b64 v239, v[222:223], v[232:233] offset0:60 offset1:90
	ds_store_2addr_b64 v239, v[148:149], v[30:31] offset0:120 offset1:150
	ds_store_2addr_b64 v239, v[146:147], v[92:93] offset0:180 offset1:210
	v_fma_f64 v[226:227], v[36:37], s[12:13], v[226:227]
	v_fma_f64 v[36:37], v[36:37], s[14:15], v[98:99]
	v_add_f64_e32 v[98:99], v[8:9], v[14:15]
	v_add_f64_e64 v[8:9], v[8:9], -v[14:15]
	v_fma_f64 v[14:15], v[44:45], s[18:19], v[24:25]
	v_fma_f64 v[24:25], v[44:45], s[0:1], v[24:25]
	v_add_f64_e32 v[102:103], v[56:57], v[116:117]
	v_add_f64_e64 v[56:57], v[56:57], -v[116:117]
	v_add_f64_e32 v[116:117], v[126:127], v[122:123]
	v_add_f64_e64 v[122:123], v[126:127], -v[122:123]
	v_add_f64_e32 v[126:127], v[82:83], v[134:135]
	v_mul_f64_e32 v[28:29], s[26:27], v[62:63]
	v_add_f64_e64 v[82:83], v[82:83], -v[134:135]
	v_add_f64_e32 v[134:135], v[78:79], v[138:139]
	v_fma_f64 v[30:31], v[156:157], s[14:15], v[90:91]
	v_mul_f64_e32 v[32:33], s[24:25], v[86:87]
	v_add_f64_e64 v[78:79], v[78:79], -v[138:139]
	v_add_f64_e32 v[54:55], v[182:183], v[104:105]
	v_fma_f64 v[62:63], v[154:155], s[12:13], v[144:145]
	v_fma_f64 v[72:73], v[154:155], s[14:15], v[188:189]
	v_add_f64_e32 v[86:87], v[176:177], v[130:131]
	v_add_f64_e32 v[90:91], v[142:143], v[152:153]
	v_mul_f64_e32 v[104:105], s[26:27], v[172:173]
	v_fma_f64 v[92:93], v[136:137], s[12:13], v[106:107]
	v_mul_f64_e32 v[94:95], s[20:21], v[166:167]
	v_add_f64_e32 v[106:107], v[110:111], v[178:179]
	v_fma_f64 v[110:111], v[44:45], s[12:13], v[170:171]
	v_add_f64_e32 v[16:17], v[26:27], v[16:17]
	v_fma_f64 v[26:27], v[44:45], s[14:15], v[158:159]
	v_add_f64_e32 v[44:45], v[46:47], v[224:225]
	v_mul_f64_e32 v[46:47], s[20:21], v[168:169]
	v_add_nc_u32_e32 v119, 0x400, v240
	ds_store_2addr_b64 v242, v[80:81], v[76:77] offset0:112 offset1:142
	ds_store_2addr_b64 v240, v[98:99], v[102:103] offset1:30
	ds_store_2addr_b64 v240, v[116:117], v[126:127] offset0:60 offset1:90
	ds_store_2addr_b64 v240, v[134:135], v[8:9] offset0:120 offset1:150
	;; [unrolled: 1-line block ×4, first 2 shown]
	v_fma_f64 v[14:15], v[50:51], s[12:13], v[14:15]
	v_fma_f64 v[24:25], v[50:51], s[14:15], v[24:25]
	v_mul_f64_e32 v[50:51], s[24:25], v[66:67]
	v_add_f64_e32 v[8:9], v[20:21], v[10:11]
	v_fma_f64 v[10:11], v[84:85], s[12:13], v[162:163]
	v_add_f64_e32 v[20:21], v[132:133], v[128:129]
	v_fma_f64 v[56:57], v[52:53], s[20:21], v[70:71]
	v_fma_f64 v[76:77], v[68:69], s[20:21], v[226:227]
	;; [unrolled: 1-line block ×7, first 2 shown]
	v_add_f64_e32 v[42:43], v[86:87], v[42:43]
	v_fma_f64 v[52:53], v[54:55], s[20:21], v[62:63]
	v_fma_f64 v[54:55], v[54:55], s[20:21], v[72:73]
	;; [unrolled: 1-line block ×6, first 2 shown]
	v_add_f64_e32 v[4:5], v[16:17], v[4:5]
	v_fma_f64 v[16:17], v[106:107], s[20:21], v[110:111]
	v_fma_f64 v[34:35], v[34:35], s[0:1], v[38:39]
	;; [unrolled: 1-line block ×3, first 2 shown]
	v_lshl_add_u32 v104, v192, 3, 0
	v_lshl_add_u32 v105, v194, 3, 0
	;; [unrolled: 1-line block ×4, first 2 shown]
	global_wb scope:SCOPE_SE
	s_wait_dscnt 0x0
	s_barrier_signal -1
	s_barrier_wait -1
	global_inv scope:SCOPE_SE
	ds_load_b64 v[70:71], v201
	ds_load_b64 v[66:67], v208
	;; [unrolled: 1-line block ×4, first 2 shown]
	v_fma_f64 v[6:7], v[44:45], s[20:21], v[14:15]
	v_fma_f64 v[14:15], v[74:75], s[12:13], v[18:19]
	;; [unrolled: 1-line block ×5, first 2 shown]
	v_add_f64_e32 v[44:45], v[20:21], v[8:9]
	v_add_f64_e32 v[46:47], v[56:57], v[10:11]
	v_add_f64_e64 v[86:87], v[20:21], -v[8:9]
	v_add_f64_e64 v[56:57], v[56:57], -v[10:11]
	v_add_f64_e32 v[50:51], v[76:77], v[68:69]
	v_add_f64_e32 v[84:85], v[36:37], v[28:29]
	v_add_f64_e64 v[68:69], v[76:77], -v[68:69]
	v_add_f64_e32 v[88:89], v[30:31], v[32:33]
	v_add_f64_e64 v[90:91], v[36:37], -v[28:29]
	v_add_f64_e64 v[92:93], v[30:31], -v[32:33]
	v_add_f64_e32 v[94:95], v[42:43], v[2:3]
	v_add_f64_e32 v[96:97], v[52:53], v[22:23]
	;; [unrolled: 1-line block ×3, first 2 shown]
	v_add_f64_e64 v[40:41], v[58:59], -v[40:41]
	v_add_f64_e32 v[58:59], v[54:55], v[48:49]
	v_add_f64_e64 v[48:49], v[54:55], -v[48:49]
	v_add_f64_e32 v[98:99], v[12:13], v[60:61]
	v_add_f64_e32 v[54:55], v[4:5], v[0:1]
	v_add_f64_e64 v[42:43], v[42:43], -v[2:3]
	v_add_f64_e64 v[52:53], v[52:53], -v[22:23]
	;; [unrolled: 1-line block ×4, first 2 shown]
	v_add_f64_e32 v[107:108], v[16:17], v[14:15]
	v_add_f64_e32 v[113:114], v[18:19], v[34:35]
	;; [unrolled: 1-line block ×4, first 2 shown]
	v_add_f64_e64 v[109:110], v[16:17], -v[14:15]
	v_add_f64_e64 v[117:118], v[6:7], -v[24:25]
	;; [unrolled: 1-line block ×4, first 2 shown]
	ds_load_b64 v[80:81], v104
	ds_load_b64 v[76:77], v105
	ds_load_b64 v[82:83], v219
	ds_load_b64 v[74:75], v106
	ds_load_b64 v[78:79], v220
	ds_load_b64 v[72:73], v221
	ds_load_2addr_b64 v[36:39], v213 offset0:132 offset1:222
	ds_load_2addr_b64 v[32:35], v207 offset0:8 offset1:98
	;; [unrolled: 1-line block ×10, first 2 shown]
	global_wb scope:SCOPE_SE
	s_wait_dscnt 0x0
	s_barrier_signal -1
	s_barrier_wait -1
	global_inv scope:SCOPE_SE
	ds_store_2addr_b64 v238, v[44:45], v[46:47] offset1:30
	ds_store_2addr_b64 v238, v[50:51], v[84:85] offset0:60 offset1:90
	ds_store_2addr_b64 v238, v[88:89], v[86:87] offset0:120 offset1:150
	;; [unrolled: 1-line block ×4, first 2 shown]
	ds_store_2addr_b64 v239, v[94:95], v[96:97] offset1:30
	ds_store_2addr_b64 v239, v[98:99], v[100:101] offset0:60 offset1:90
	ds_store_2addr_b64 v239, v[58:59], v[42:43] offset0:120 offset1:150
	;; [unrolled: 1-line block ×3, first 2 shown]
	v_dual_mov_b32 v69, 0 :: v_dual_lshlrev_b32 v68, 1, v196
	ds_store_2addr_b64 v242, v[40:41], v[48:49] offset0:112 offset1:142
	ds_store_2addr_b64 v240, v[54:55], v[107:108] offset1:30
	ds_store_2addr_b64 v240, v[111:112], v[113:114] offset0:60 offset1:90
	ds_store_2addr_b64 v240, v[115:116], v[102:103] offset0:120 offset1:150
	v_lshlrev_b64_e32 v[40:41], 4, v[68:69]
	v_dual_mov_b32 v43, v69 :: v_dual_lshlrev_b32 v42, 1, v217
	v_subrev_nc_u32_e32 v44, 30, v196
	ds_store_2addr_b64 v240, v[109:110], v[117:118] offset0:180 offset1:210
	ds_store_2addr_b64 v119, v[122:123], v[124:125] offset0:112 offset1:142
	v_add_co_u32 v56, s0, s8, v40
	v_lshlrev_b64_e32 v[42:43], 4, v[42:43]
	s_wait_alu 0xf1ff
	v_add_co_ci_u32_e64 v57, s0, s9, v41, s0
	v_cmp_gt_u32_e64 s0, 30, v196
	global_wb scope:SCOPE_SE
	s_wait_dscnt 0x0
	s_barrier_signal -1
	s_barrier_wait -1
	global_inv scope:SCOPE_SE
	s_wait_alu 0xf1ff
	v_cndmask_b32_e64 v84, v44, v190, s0
	v_add_co_u32 v60, s0, s8, v42
	s_wait_alu 0xf1ff
	v_add_co_ci_u32_e64 v61, s0, s9, v43, s0
	v_dual_mov_b32 v41, v69 :: v_dual_lshlrev_b32 v40, 1, v218
	s_clause 0x3
	global_load_b128 v[85:88], v[56:57], off offset:4752
	global_load_b128 v[89:92], v[56:57], off offset:4768
	;; [unrolled: 1-line block ×4, first 2 shown]
	v_dual_mov_b32 v43, v69 :: v_dual_lshlrev_b32 v42, 1, v84
	v_lshrrev_b16 v102, 2, v197
	v_lshlrev_b64_e32 v[40:41], 4, v[40:41]
	v_lshrrev_b16 v101, 2, v195
	v_add_nc_u32_e32 v52, 0x78, v68
	v_lshlrev_b64_e32 v[42:43], 4, v[42:43]
	v_dual_mov_b32 v53, v69 :: v_dual_and_b32 v102, 0xffff, v102
	v_add_co_u32 v58, s0, s8, v40
	s_wait_alu 0xf1ff
	v_add_co_ci_u32_e64 v59, s0, s9, v41, s0
	s_clause 0x1
	global_load_b128 v[107:110], v[58:59], off offset:4752
	global_load_b128 v[44:47], v[58:59], off offset:4768
	v_add_co_u32 v40, s0, s8, v42
	s_wait_alu 0xf1ff
	v_add_co_ci_u32_e64 v41, s0, s9, v43, s0
	v_lshrrev_b16 v42, 2, v193
	v_lshrrev_b16 v43, 2, v194
	v_add_nc_u32_e32 v68, 0x12c, v68
	v_and_b32_e32 v101, 0xffff, v101
	v_lshlrev_b64_e32 v[52:53], 4, v[52:53]
	v_and_b32_e32 v54, 0xffff, v42
	v_and_b32_e32 v55, 0xffff, v43
	s_clause 0x1
	global_load_b128 v[48:51], v[40:41], off offset:4752
	global_load_b128 v[40:43], v[40:41], off offset:4768
	v_mul_u32_u24_e32 v113, 0x6d3b, v102
	v_mul_u32_u24_e32 v112, 0x6d3b, v101
	;; [unrolled: 1-line block ×4, first 2 shown]
	v_add_co_u32 v52, s0, s8, v52
	v_lshrrev_b32_e32 v116, 21, v113
	s_delay_alu instid0(VALU_DEP_4) | instskip(NEXT) | instid1(VALU_DEP_4)
	v_lshrrev_b32_e32 v103, 21, v54
	v_lshrrev_b32_e32 v111, 21, v55
	v_lshlrev_b64_e32 v[54:55], 4, v[68:69]
	s_wait_alu 0xf1ff
	v_add_co_ci_u32_e64 v53, s0, s9, v53, s0
	v_mul_lo_u16 v68, 0x12c, v103
	v_mul_lo_u16 v111, 0x12c, v111
	v_lshrrev_b32_e32 v115, 21, v112
	v_add_co_u32 v101, s0, s8, v54
	s_wait_alu 0xf1ff
	v_add_co_ci_u32_e64 v102, s0, s9, v55, s0
	v_sub_nc_u16 v117, v194, v111
	v_mul_lo_u16 v122, 0x12c, v116
	v_sub_nc_u16 v68, v193, v68
	s_clause 0x1
	global_load_b128 v[111:114], v[52:53], off offset:4752
	global_load_b128 v[52:55], v[52:53], off offset:4768
	v_mul_lo_u16 v119, 0x12c, v115
	v_and_b32_e32 v189, 0xffff, v117
	global_load_b128 v[115:118], v[101:102], off offset:4752
	v_sub_nc_u16 v126, v197, v122
	global_load_b128 v[122:125], v[101:102], off offset:4768
	v_and_b32_e32 v68, 0xffff, v68
	v_sub_nc_u16 v119, v195, v119
	v_lshlrev_b32_e32 v138, 5, v189
	v_and_b32_e32 v236, 0xffff, v126
	v_cmp_lt_u32_e64 s0, 29, v196
	v_lshlrev_b32_e32 v134, 5, v68
	v_and_b32_e32 v119, 0xffff, v119
	s_clause 0x1
	global_load_b128 v[126:129], v134, s[8:9] offset:4752
	global_load_b128 v[130:133], v138, s[8:9] offset:4752
	v_lshlrev_b32_e32 v101, 5, v119
	v_lshlrev_b32_e32 v102, 5, v236
	s_clause 0x5
	global_load_b128 v[134:137], v134, s[8:9] offset:4768
	global_load_b128 v[138:141], v138, s[8:9] offset:4768
	;; [unrolled: 1-line block ×6, first 2 shown]
	ds_load_2addr_b64 v[162:165], v213 offset0:132 offset1:222
	ds_load_2addr_b64 v[166:169], v207 offset0:8 offset1:98
	;; [unrolled: 1-line block ×4, first 2 shown]
	v_lshlrev_b32_e32 v84, 3, v84
	v_mul_u32_u24_e32 v103, 0x1c20, v103
	v_lshlrev_b32_e32 v68, 3, v68
	v_add_nc_u32_e32 v238, 0x1c00, v201
	v_lshl_add_u32 v119, v119, 3, 0
	s_delay_alu instid0(VALU_DEP_3)
	v_add3_u32 v68, 0, v103, v68
	v_lshl_add_u32 v103, v189, 3, 0
	v_lshl_add_u32 v189, v236, 3, 0
	s_wait_loadcnt_dscnt 0x1303
	v_mul_f64_e32 v[158:159], v[162:163], v[87:88]
	v_mul_f64_e32 v[87:88], v[36:37], v[87:88]
	s_wait_loadcnt 0x11
	v_mul_f64_e32 v[178:179], v[164:165], v[95:96]
	v_mul_f64_e32 v[95:96], v[38:39], v[95:96]
	s_wait_dscnt 0x2
	v_mul_f64_e32 v[182:183], v[166:167], v[91:92]
	v_mul_f64_e32 v[184:185], v[32:33], v[91:92]
	s_wait_loadcnt 0x10
	v_mul_f64_e32 v[186:187], v[168:169], v[99:100]
	v_mul_f64_e32 v[217:218], v[34:35], v[99:100]
	ds_load_2addr_b64 v[99:102], v205 offset0:108 offset1:198
	s_wait_loadcnt_dscnt 0xf02
	v_mul_f64_e32 v[222:223], v[170:171], v[109:110]
	v_mul_f64_e32 v[109:110], v[28:29], v[109:110]
	s_wait_loadcnt_dscnt 0xe01
	v_mul_f64_e32 v[226:227], v[174:175], v[46:47]
	v_mul_f64_e32 v[46:47], v[24:25], v[46:47]
	s_wait_loadcnt 0xd
	v_mul_f64_e32 v[224:225], v[172:173], v[50:51]
	v_mul_f64_e32 v[50:51], v[30:31], v[50:51]
	s_wait_loadcnt 0xc
	v_mul_f64_e32 v[234:235], v[176:177], v[42:43]
	v_mul_f64_e32 v[42:43], v[26:27], v[42:43]
	v_fma_f64 v[158:159], v[36:37], v[85:86], v[158:159]
	v_fma_f64 v[228:229], v[162:163], v[85:86], -v[87:88]
	ds_load_2addr_b64 v[85:88], v210 offset0:112 offset1:202
	v_fma_f64 v[230:231], v[38:39], v[93:94], v[178:179]
	ds_load_2addr_b64 v[178:181], v214 offset0:160 offset1:250
	v_fma_f64 v[232:233], v[164:165], v[93:94], -v[95:96]
	ds_load_2addr_b64 v[91:94], v211 offset0:36 offset1:126
	v_fma_f64 v[36:37], v[32:33], v[89:90], v[182:183]
	v_fma_f64 v[32:33], v[166:167], v[89:90], -v[184:185]
	ds_load_2addr_b64 v[162:165], v209 offset0:84 offset1:174
	v_fma_f64 v[38:39], v[34:35], v[97:98], v[186:187]
	v_fma_f64 v[34:35], v[168:169], v[97:98], -v[217:218]
	ds_load_2addr_b64 v[95:98], v216 offset0:88 offset1:178
	s_wait_alu 0xf1ff
	v_cndmask_b32_e64 v217, 0, 0x1c20, s0
	s_wait_loadcnt_dscnt 0xb05
	v_mul_f64_e32 v[89:90], v[99:100], v[113:114]
	v_mul_f64_e32 v[113:114], v[20:21], v[113:114]
	s_delay_alu instid0(VALU_DEP_3)
	v_add3_u32 v239, 0, v217, v84
	v_fma_f64 v[28:29], v[28:29], v[107:108], v[222:223]
	s_wait_loadcnt 0x9
	v_mul_f64_e32 v[166:167], v[101:102], v[117:118]
	v_fma_f64 v[107:108], v[170:171], v[107:108], -v[109:110]
	s_wait_dscnt 0x4
	v_mul_f64_e32 v[109:110], v[85:86], v[54:55]
	s_wait_loadcnt 0x8
	v_mul_f64_e32 v[168:169], v[87:88], v[124:125]
	v_fma_f64 v[24:25], v[24:25], v[44:45], v[226:227]
	v_fma_f64 v[44:45], v[174:175], v[44:45], -v[46:47]
	v_mul_f64_e32 v[54:55], v[16:17], v[54:55]
	v_mul_f64_e32 v[124:125], v[18:19], v[124:125]
	;; [unrolled: 1-line block ×3, first 2 shown]
	v_fma_f64 v[30:31], v[30:31], v[48:49], v[224:225]
	s_wait_loadcnt_dscnt 0x703
	v_mul_f64_e32 v[170:171], v[178:179], v[128:129]
	v_fma_f64 v[48:49], v[172:173], v[48:49], -v[50:51]
	s_wait_loadcnt_dscnt 0x502
	v_mul_f64_e32 v[50:51], v[91:92], v[136:137]
	v_mul_f64_e32 v[182:183], v[180:181], v[132:133]
	s_wait_loadcnt 0x4
	v_mul_f64_e32 v[172:173], v[93:94], v[140:141]
	s_wait_loadcnt_dscnt 0x301
	v_mul_f64_e32 v[184:185], v[162:163], v[144:145]
	s_wait_loadcnt_dscnt 0x100
	v_mul_f64_e32 v[46:47], v[95:96], v[152:153]
	v_mul_f64_e32 v[186:187], v[164:165], v[148:149]
	s_wait_loadcnt 0x0
	v_mul_f64_e32 v[174:175], v[97:98], v[156:157]
	v_fma_f64 v[26:27], v[26:27], v[40:41], v[234:235]
	v_fma_f64 v[40:41], v[176:177], v[40:41], -v[42:43]
	v_mul_f64_e32 v[42:43], v[12:13], v[128:129]
	v_mul_f64_e32 v[128:129], v[14:15], v[132:133]
	;; [unrolled: 1-line block ×5, first 2 shown]
	v_fma_f64 v[20:21], v[20:21], v[111:112], v[89:90]
	v_fma_f64 v[89:90], v[99:100], v[111:112], -v[113:114]
	v_mul_f64_e32 v[99:100], v[4:5], v[144:145]
	v_mul_f64_e32 v[111:112], v[6:7], v[148:149]
	;; [unrolled: 1-line block ×3, first 2 shown]
	v_fma_f64 v[22:23], v[22:23], v[115:116], v[166:167]
	v_fma_f64 v[16:17], v[16:17], v[52:53], v[109:110]
	;; [unrolled: 1-line block ×3, first 2 shown]
	ds_load_b64 v[109:110], v201
	ds_load_b64 v[144:145], v208
	;; [unrolled: 1-line block ×4, first 2 shown]
	v_fma_f64 v[52:53], v[85:86], v[52:53], -v[54:55]
	v_fma_f64 v[54:55], v[87:88], v[122:123], -v[124:125]
	;; [unrolled: 1-line block ×3, first 2 shown]
	v_add_f64_e32 v[115:116], v[28:29], v[24:25]
	v_add_f64_e32 v[122:123], v[70:71], v[158:159]
	;; [unrolled: 1-line block ×3, first 2 shown]
	v_fma_f64 v[12:13], v[12:13], v[126:127], v[170:171]
	v_fma_f64 v[8:9], v[8:9], v[134:135], v[50:51]
	;; [unrolled: 1-line block ×8, first 2 shown]
	v_add_f64_e32 v[117:118], v[30:31], v[26:27]
	ds_load_b64 v[50:51], v104
	ds_load_b64 v[156:157], v105
	;; [unrolled: 1-line block ×3, first 2 shown]
	v_fma_f64 v[42:43], v[178:179], v[126:127], -v[42:43]
	v_fma_f64 v[84:85], v[180:181], v[130:131], -v[128:129]
	;; [unrolled: 1-line block ×5, first 2 shown]
	ds_load_b64 v[46:47], v219
	ds_load_b64 v[168:169], v220
	;; [unrolled: 1-line block ×3, first 2 shown]
	v_add_f64_e32 v[154:155], v[107:108], v[44:45]
	v_add_f64_e32 v[126:127], v[64:65], v[28:29]
	v_add_f64_e64 v[136:137], v[228:229], -v[32:33]
	s_wait_dscnt 0x9
	v_add_f64_e32 v[182:183], v[109:110], v[228:229]
	v_add_f64_e32 v[128:129], v[82:83], v[30:31]
	s_wait_dscnt 0x8
	v_add_f64_e32 v[186:187], v[144:145], v[232:233]
	v_add_f64_e64 v[140:141], v[232:233], -v[34:35]
	v_fma_f64 v[93:94], v[162:163], v[142:143], -v[99:100]
	v_fma_f64 v[99:100], v[164:165], v[146:147], -v[111:112]
	v_add_f64_e32 v[111:112], v[158:159], v[36:37]
	v_fma_f64 v[95:96], v[95:96], v[150:151], -v[113:114]
	v_add_f64_e32 v[113:114], v[230:231], v[38:39]
	v_add_f64_e32 v[134:135], v[20:21], v[16:17]
	;; [unrolled: 1-line block ×6, first 2 shown]
	v_add_f64_e64 v[172:173], v[48:49], -v[40:41]
	s_wait_dscnt 0x2
	v_add_f64_e32 v[48:49], v[46:47], v[48:49]
	v_add_f64_e32 v[130:131], v[62:63], v[20:21]
	;; [unrolled: 1-line block ×3, first 2 shown]
	v_fma_f64 v[64:65], v[115:116], -0.5, v[64:65]
	v_add_f64_e64 v[146:147], v[107:108], -v[44:45]
	v_add_f64_e32 v[164:165], v[12:13], v[8:9]
	v_add_f64_e32 v[107:108], v[148:149], v[107:108]
	;; [unrolled: 1-line block ×3, first 2 shown]
	v_add_f64_e64 v[184:185], v[89:90], -v[52:53]
	v_add_f64_e32 v[176:177], v[4:5], v[0:1]
	v_add_f64_e64 v[217:218], v[101:102], -v[54:55]
	v_add_f64_e32 v[180:181], v[6:7], v[2:3]
	v_fma_f64 v[82:83], v[117:118], -0.5, v[82:83]
	v_add_f64_e32 v[222:223], v[78:79], v[12:13]
	v_add_f64_e32 v[226:227], v[76:77], v[14:15]
	v_add_f64_e64 v[178:179], v[230:231], -v[38:39]
	v_add_f64_e32 v[115:116], v[42:43], v[86:87]
	v_add_f64_e32 v[117:118], v[84:85], v[91:92]
	v_add_f64_e64 v[224:225], v[42:43], -v[86:87]
	v_add_f64_e64 v[230:231], v[84:85], -v[91:92]
	v_add_f64_e32 v[228:229], v[74:75], v[4:5]
	v_add_f64_e32 v[236:237], v[72:73], v[6:7]
	v_add_f64_e64 v[158:159], v[158:159], -v[36:37]
	v_add_f64_e32 v[36:37], v[122:123], v[36:37]
	v_add_f64_e64 v[28:29], v[28:29], -v[24:25]
	v_add_f64_e32 v[38:39], v[124:125], v[38:39]
	v_fma_f64 v[124:125], v[154:155], -0.5, v[148:149]
	v_add_f64_e32 v[24:25], v[126:127], v[24:25]
	v_add_f64_e64 v[234:235], v[99:100], -v[97:98]
	v_fma_f64 v[70:71], v[111:112], -0.5, v[70:71]
	v_add_f64_e32 v[111:112], v[89:90], v[52:53]
	v_fma_f64 v[66:67], v[113:114], -0.5, v[66:67]
	v_add_f64_e32 v[113:114], v[101:102], v[54:55]
	;; [unrolled: 2-line block ×4, first 2 shown]
	v_add_f64_e64 v[232:233], v[93:94], -v[95:96]
	v_fma_f64 v[109:110], v[142:143], -0.5, v[109:110]
	v_fma_f64 v[122:123], v[150:151], -0.5, v[144:145]
	v_add_f64_e32 v[126:127], v[182:183], v[32:33]
	v_add_f64_e64 v[30:31], v[30:31], -v[26:27]
	v_add_f64_e32 v[26:27], v[128:129], v[26:27]
	v_fma_f64 v[78:79], v[164:165], -0.5, v[78:79]
	v_add_f64_e32 v[128:129], v[186:187], v[34:35]
	v_fma_f64 v[76:77], v[174:175], -0.5, v[76:77]
	v_fma_f64 v[46:47], v[162:163], -0.5, v[46:47]
	;; [unrolled: 1-line block ×3, first 2 shown]
	v_add_f64_e32 v[40:41], v[48:49], v[40:41]
	v_fma_f64 v[72:73], v[180:181], -0.5, v[72:73]
	v_add_f64_e32 v[88:89], v[152:153], v[89:90]
	v_add_f64_e32 v[101:102], v[50:51], v[101:102]
	v_add_f64_e64 v[20:21], v[20:21], -v[16:17]
	v_add_f64_e64 v[22:23], v[22:23], -v[18:19]
	s_wait_dscnt 0x1
	v_add_f64_e32 v[42:43], v[168:169], v[42:43]
	v_add_f64_e64 v[12:13], v[12:13], -v[8:9]
	v_add_f64_e64 v[14:15], v[14:15], -v[10:11]
	;; [unrolled: 1-line block ×4, first 2 shown]
	v_fma_f64 v[115:116], v[115:116], -0.5, v[168:169]
	v_fma_f64 v[117:118], v[117:118], -0.5, v[156:157]
	v_add_f64_e32 v[44:45], v[107:108], v[44:45]
	v_fma_f64 v[107:108], v[172:173], s[2:3], v[82:83]
	v_add_f64_e32 v[84:85], v[156:157], v[84:85]
	v_fma_f64 v[82:83], v[172:173], s[4:5], v[82:83]
	v_add_f64_e32 v[16:17], v[130:131], v[16:17]
	v_add_f64_e32 v[18:19], v[132:133], v[18:19]
	v_fma_f64 v[32:33], v[136:137], s[2:3], v[70:71]
	v_fma_f64 v[34:35], v[136:137], s[4:5], v[70:71]
	;; [unrolled: 1-line block ×4, first 2 shown]
	v_fma_f64 v[111:112], v[111:112], -0.5, v[152:153]
	v_fma_f64 v[50:51], v[113:114], -0.5, v[50:51]
	;; [unrolled: 1-line block ×3, first 2 shown]
	s_wait_dscnt 0x0
	v_fma_f64 v[138:139], v[138:139], -0.5, v[170:171]
	v_fma_f64 v[70:71], v[146:147], s[2:3], v[64:65]
	v_fma_f64 v[64:65], v[146:147], s[4:5], v[64:65]
	;; [unrolled: 1-line block ×4, first 2 shown]
	v_add_f64_e32 v[93:94], v[166:167], v[93:94]
	v_fma_f64 v[62:63], v[184:185], s[4:5], v[62:63]
	v_fma_f64 v[80:81], v[217:218], s[4:5], v[80:81]
	v_add_f64_e32 v[8:9], v[222:223], v[8:9]
	v_fma_f64 v[136:137], v[224:225], s[2:3], v[78:79]
	v_add_f64_e32 v[99:100], v[170:171], v[99:100]
	v_fma_f64 v[78:79], v[224:225], s[4:5], v[78:79]
	v_add_f64_e32 v[10:11], v[226:227], v[10:11]
	v_fma_f64 v[140:141], v[230:231], s[2:3], v[76:77]
	v_fma_f64 v[76:77], v[230:231], s[4:5], v[76:77]
	v_add_f64_e32 v[0:1], v[228:229], v[0:1]
	v_fma_f64 v[113:114], v[232:233], s[2:3], v[74:75]
	v_fma_f64 v[74:75], v[232:233], s[4:5], v[74:75]
	v_add_f64_e32 v[2:3], v[236:237], v[2:3]
	v_fma_f64 v[142:143], v[234:235], s[2:3], v[72:73]
	v_fma_f64 v[72:73], v[234:235], s[4:5], v[72:73]
	;; [unrolled: 1-line block ×6, first 2 shown]
	global_wb scope:SCOPE_SE
	s_barrier_signal -1
	s_barrier_wait -1
	global_inv scope:SCOPE_SE
	v_fma_f64 v[148:149], v[28:29], s[4:5], v[124:125]
	ds_store_b64 v201, v[36:37]
	ds_store_b64 v201, v[32:33] offset:2400
	ds_store_b64 v201, v[34:35] offset:4800
	ds_store_b64 v208, v[38:39]
	ds_store_b64 v208, v[48:49] offset:2400
	ds_store_b64 v208, v[66:67] offset:4800
	;; [unrolled: 3-line block ×4, first 2 shown]
	ds_store_2addr_b64 v238, v[16:17], v[18:19] offset0:64 offset1:154
	ds_store_2addr_b64 v205, v[130:131], v[132:133] offset0:108 offset1:198
	;; [unrolled: 1-line block ×3, first 2 shown]
	ds_store_b64 v68, v[8:9]
	ds_store_b64 v68, v[136:137] offset:2400
	ds_store_b64 v68, v[78:79] offset:4800
	ds_store_b64 v103, v[10:11] offset:14400
	ds_store_b64 v103, v[140:141] offset:16800
	ds_store_b64 v103, v[76:77] offset:19200
	ds_store_b64 v119, v[0:1] offset:14400
	ds_store_b64 v119, v[113:114] offset:16800
	ds_store_b64 v119, v[74:75] offset:19200
	ds_store_b64 v189, v[2:3] offset:14400
	ds_store_b64 v189, v[142:143] offset:16800
	ds_store_b64 v189, v[72:73] offset:19200
	global_wb scope:SCOPE_SE
	s_wait_dscnt 0x0
	s_barrier_signal -1
	s_barrier_wait -1
	global_inv scope:SCOPE_SE
	ds_load_b64 v[162:163], v220
	ds_load_b64 v[168:169], v221
	;; [unrolled: 1-line block ×10, first 2 shown]
	ds_load_2addr_b64 v[36:39], v213 offset0:132 offset1:222
	ds_load_2addr_b64 v[32:35], v207 offset0:8 offset1:98
	;; [unrolled: 1-line block ×3, first 2 shown]
	v_fma_f64 v[124:125], v[28:29], s[2:3], v[124:125]
	v_fma_f64 v[150:151], v[30:31], s[4:5], v[46:47]
	;; [unrolled: 1-line block ×3, first 2 shown]
	v_add_f64_e32 v[48:49], v[88:89], v[52:53]
	v_add_f64_e32 v[54:55], v[101:102], v[54:55]
	v_fma_f64 v[52:53], v[20:21], s[4:5], v[111:112]
	v_fma_f64 v[62:63], v[20:21], s[2:3], v[111:112]
	;; [unrolled: 1-line block ×4, first 2 shown]
	v_add_f64_e32 v[42:43], v[42:43], v[86:87]
	v_fma_f64 v[66:67], v[12:13], s[4:5], v[115:116]
	v_fma_f64 v[70:71], v[12:13], s[2:3], v[115:116]
	;; [unrolled: 1-line block ×8, first 2 shown]
	ds_load_2addr_b64 v[12:15], v215 offset0:60 offset1:150
	ds_load_2addr_b64 v[4:7], v205 offset0:108 offset1:198
	;; [unrolled: 1-line block ×7, first 2 shown]
	v_add_f64_e32 v[72:73], v[84:85], v[91:92]
	v_add_f64_e32 v[78:79], v[93:94], v[95:96]
	v_add_f64_e32 v[84:85], v[99:100], v[97:98]
	global_wb scope:SCOPE_SE
	s_wait_dscnt 0x0
	s_barrier_signal -1
	s_barrier_wait -1
	global_inv scope:SCOPE_SE
	ds_store_b64 v201, v[126:127]
	ds_store_b64 v201, v[144:145] offset:2400
	ds_store_b64 v201, v[109:110] offset:4800
	ds_store_b64 v208, v[128:129]
	ds_store_b64 v208, v[146:147] offset:2400
	ds_store_b64 v208, v[122:123] offset:4800
	;; [unrolled: 3-line block ×4, first 2 shown]
	ds_store_2addr_b64 v238, v[48:49], v[54:55] offset0:64 offset1:154
	ds_store_2addr_b64 v205, v[52:53], v[64:65] offset0:108 offset1:198
	;; [unrolled: 1-line block ×3, first 2 shown]
	ds_store_b64 v68, v[42:43]
	ds_store_b64 v68, v[66:67] offset:2400
	ds_store_b64 v68, v[70:71] offset:4800
	;; [unrolled: 1-line block ×11, first 2 shown]
	global_wb scope:SCOPE_SE
	s_wait_dscnt 0x0
	s_barrier_signal -1
	s_barrier_wait -1
	global_inv scope:SCOPE_SE
	s_and_saveexec_b32 s0, vcc_lo
	s_cbranch_execz .LBB0_15
; %bb.14:
	s_clause 0x3
	global_load_b128 v[128:131], v[60:61], off offset:14352
	global_load_b128 v[148:151], v[56:57], off offset:14352
	;; [unrolled: 1-line block ×4, first 2 shown]
	v_lshlrev_b32_e32 v68, 1, v197
	v_sub_nc_u32_e32 v217, 0, v203
	v_sub_nc_u32_e32 v218, 0, v204
	;; [unrolled: 1-line block ×3, first 2 shown]
	v_mul_lo_u32 v219, s11, v120
	v_lshlrev_b64_e32 v[40:41], 4, v[68:69]
	v_lshlrev_b32_e32 v68, 1, v195
	v_mul_lo_u32 v220, s10, v121
	v_mad_co_u64_u32 v[203:204], null, s10, v120, 0
	v_add_nc_u32_e32 v200, v200, v206
	s_delay_alu instid0(VALU_DEP_4) | instskip(SKIP_4) | instid1(VALU_DEP_4)
	v_lshlrev_b64_e32 v[42:43], 4, v[68:69]
	v_add_co_u32 v40, vcc_lo, s8, v40
	s_wait_alu 0xfffd
	v_add_co_ci_u32_e32 v41, vcc_lo, s9, v41, vcc_lo
	v_lshlrev_b32_e32 v68, 1, v194
	v_add_co_u32 v42, vcc_lo, s8, v42
	s_wait_alu 0xfffd
	v_add_co_ci_u32_e32 v43, vcc_lo, s9, v43, vcc_lo
	global_load_b128 v[100:103], v[40:41], off offset:14352
	v_lshlrev_b64_e32 v[44:45], 4, v[68:69]
	v_lshlrev_b32_e32 v68, 1, v193
	s_clause 0x4
	global_load_b128 v[96:99], v[42:43], off offset:14352
	global_load_b128 v[92:95], v[58:59], off offset:14352
	;; [unrolled: 1-line block ×5, first 2 shown]
	v_lshlrev_b64_e32 v[40:41], 4, v[68:69]
	v_lshlrev_b32_e32 v68, 1, v192
	v_add_co_u32 v42, vcc_lo, s8, v44
	s_wait_alu 0xfffd
	v_add_co_ci_u32_e32 v43, vcc_lo, s9, v45, vcc_lo
	s_delay_alu instid0(VALU_DEP_3)
	v_lshlrev_b64_e32 v[44:45], 4, v[68:69]
	v_lshlrev_b32_e32 v68, 1, v191
	v_add_co_u32 v40, vcc_lo, s8, v40
	s_wait_alu 0xfffd
	v_add_co_ci_u32_e32 v41, vcc_lo, s9, v41, vcc_lo
	s_clause 0x1
	global_load_b128 v[52:55], v[42:43], off offset:14352
	global_load_b128 v[48:51], v[42:43], off offset:14368
	v_add_co_u32 v42, vcc_lo, s8, v44
	s_wait_alu 0xfffd
	v_add_co_ci_u32_e32 v43, vcc_lo, s9, v45, vcc_lo
	v_lshlrev_b64_e32 v[44:45], 4, v[68:69]
	v_lshlrev_b32_e32 v68, 1, v190
	s_clause 0x2
	global_load_b128 v[64:67], v[40:41], off offset:14352
	global_load_b128 v[60:63], v[40:41], off offset:14368
	;; [unrolled: 1-line block ×3, first 2 shown]
	v_add3_u32 v204, v204, v220, v219
	v_add_nc_u32_e32 v243, v199, v218
	v_add_nc_u32_e32 v244, v198, v217
	v_lshlrev_b64_e32 v[46:47], 4, v[68:69]
	v_add_co_u32 v44, vcc_lo, s8, v44
	s_wait_alu 0xfffd
	v_add_co_ci_u32_e32 v45, vcc_lo, s9, v45, vcc_lo
	s_clause 0x1
	global_load_b128 v[76:79], v[42:43], off offset:14368
	global_load_b128 v[40:43], v[44:45], off offset:14352
	v_add_co_u32 v68, vcc_lo, s8, v46
	s_wait_alu 0xfffd
	v_add_co_ci_u32_e32 v69, vcc_lo, s9, v47, vcc_lo
	s_clause 0x2
	global_load_b128 v[44:47], v[44:45], off offset:14368
	global_load_b128 v[72:75], v[68:69], off offset:14352
	;; [unrolled: 1-line block ×3, first 2 shown]
	ds_load_2addr_b64 v[144:147], v209 offset0:84 offset1:174
	ds_load_2addr_b64 v[140:143], v216 offset0:88 offset1:178
	;; [unrolled: 1-line block ×4, first 2 shown]
	ds_load_b64 v[186:187], v106
	ds_load_b64 v[184:185], v105
	;; [unrolled: 1-line block ×3, first 2 shown]
	ds_load_2addr_b64 v[108:111], v205 offset0:108 offset1:198
	ds_load_2addr_b64 v[104:107], v210 offset0:112 offset1:202
	;; [unrolled: 1-line block ×6, first 2 shown]
	ds_load_b64 v[188:189], v188
	ds_load_b64 v[194:195], v212
	;; [unrolled: 1-line block ×4, first 2 shown]
	v_mul_hi_u32 v201, 0x91a2b3c5, v196
	v_add_nc_u32_e32 v202, 0x5a, v196
	ds_load_b64 v[198:199], v200
	v_lshlrev_b64_e32 v[160:161], 4, v[160:161]
	v_add_nc_u32_e32 v205, 0xb4, v196
	v_add_nc_u32_e32 v207, 0x10e, v196
	v_mul_hi_u32 v206, 0x91a2b3c5, v202
	v_add_nc_u32_e32 v209, 0x1c2, v196
	v_lshrrev_b32_e32 v201, 9, v201
	v_mul_hi_u32 v210, 0x91a2b3c5, v205
	v_mul_hi_u32 v211, 0x91a2b3c5, v207
	s_delay_alu instid0(VALU_DEP_4) | instskip(NEXT) | instid1(VALU_DEP_4)
	v_mul_hi_u32 v213, 0x91a2b3c5, v209
	v_mul_u32_u24_e32 v214, 0x384, v201
	v_lshlrev_b64_e32 v[200:201], 4, v[203:204]
	v_lshrrev_b32_e32 v204, 9, v206
	v_lshrrev_b32_e32 v206, 9, v210
	s_delay_alu instid0(VALU_DEP_4) | instskip(SKIP_1) | instid1(VALU_DEP_4)
	v_sub_nc_u32_e32 v216, v196, v214
	v_lshrrev_b32_e32 v210, 9, v211
	v_mul_u32_u24_e32 v203, 0x384, v204
	v_add_co_u32 v218, vcc_lo, s6, v200
	s_wait_alu 0xfffd
	v_add_co_ci_u32_e32 v219, vcc_lo, s7, v201, vcc_lo
	s_delay_alu instid0(VALU_DEP_3) | instskip(NEXT) | instid1(VALU_DEP_3)
	v_sub_nc_u32_e32 v220, v202, v203
	v_add_co_u32 v160, vcc_lo, v218, v160
	s_wait_alu 0xfffd
	s_delay_alu instid0(VALU_DEP_3) | instskip(NEXT) | instid1(VALU_DEP_3)
	v_add_co_ci_u32_e32 v161, vcc_lo, v219, v161, vcc_lo
	v_mad_u32_u24 v228, 0xa8c, v204, v220
	v_add_nc_u32_e32 v225, 0x384, v216
	v_add_nc_u32_e32 v227, 0x708, v216
	v_mul_u32_u24_e32 v214, 0x384, v210
	v_mad_co_u64_u32 v[200:201], null, s16, v216, 0
	v_add_nc_u32_e32 v233, 0x708, v228
	v_mad_co_u64_u32 v[202:203], null, s16, v225, 0
	s_delay_alu instid0(VALU_DEP_4) | instskip(NEXT) | instid1(VALU_DEP_3)
	v_sub_nc_u32_e32 v207, v207, v214
	v_mad_co_u64_u32 v[219:220], null, s16, v233, 0
	v_add_nc_u32_e32 v208, 0x168, v196
	s_delay_alu instid0(VALU_DEP_3) | instskip(NEXT) | instid1(VALU_DEP_2)
	v_mad_u32_u24 v230, 0xa8c, v210, v207
	v_mul_hi_u32 v212, 0x91a2b3c5, v208
	s_delay_alu instid0(VALU_DEP_2) | instskip(SKIP_1) | instid1(VALU_DEP_3)
	v_add_nc_u32_e32 v241, 0x384, v230
	v_add_nc_u32_e32 v245, 0x708, v230
	v_lshrrev_b32_e32 v211, 9, v212
	v_lshrrev_b32_e32 v212, 9, v213
	v_mul_u32_u24_e32 v213, 0x384, v206
	s_delay_alu instid0(VALU_DEP_3) | instskip(NEXT) | instid1(VALU_DEP_3)
	v_mul_u32_u24_e32 v215, 0x384, v211
	v_mul_u32_u24_e32 v217, 0x384, v212
	s_delay_alu instid0(VALU_DEP_3) | instskip(NEXT) | instid1(VALU_DEP_3)
	v_sub_nc_u32_e32 v205, v205, v213
	v_sub_nc_u32_e32 v208, v208, v215
	s_delay_alu instid0(VALU_DEP_3) | instskip(NEXT) | instid1(VALU_DEP_3)
	v_sub_nc_u32_e32 v209, v209, v217
	v_mad_u32_u24 v229, 0xa8c, v206, v205
	v_mad_co_u64_u32 v[204:205], null, s16, v227, 0
	v_mad_co_u64_u32 v[216:217], null, s17, v216, v[201:202]
	v_mov_b32_e32 v201, v203
	v_mad_u32_u24 v231, 0xa8c, v211, v208
	v_mad_co_u64_u32 v[206:207], null, s16, v228, 0
	v_mov_b32_e32 v203, v205
	v_mad_u32_u24 v247, 0xa8c, v212, v209
	v_mad_co_u64_u32 v[208:209], null, s16, v229, 0
	v_mad_co_u64_u32 v[210:211], null, s16, v230, 0
	;; [unrolled: 1-line block ×5, first 2 shown]
	v_dual_mov_b32 v203, v207 :: v_dual_add_nc_u32 v234, 0x384, v229
	v_mov_b32_e32 v205, v209
	v_mov_b32_e32 v207, v211
	;; [unrolled: 1-line block ×3, first 2 shown]
	s_delay_alu instid0(VALU_DEP_4)
	v_mad_co_u64_u32 v[221:222], null, s16, v234, 0
	v_add_nc_u32_e32 v232, 0x384, v228
	v_mad_co_u64_u32 v[227:228], null, s17, v228, v[203:204]
	v_add_nc_u32_e32 v235, 0x708, v229
	v_mad_co_u64_u32 v[228:229], null, s17, v229, v[205:206]
	v_mad_co_u64_u32 v[229:230], null, s17, v230, v[207:208]
	;; [unrolled: 1-line block ×3, first 2 shown]
	v_add_nc_u32_e32 v248, 0x384, v231
	v_add_nc_u32_e32 v249, 0x708, v231
	v_mad_co_u64_u32 v[230:231], null, s17, v231, v[209:210]
	v_mov_b32_e32 v209, v222
	v_mad_co_u64_u32 v[217:218], null, s16, v232, 0
	v_mad_co_u64_u32 v[223:224], null, s16, v235, 0
	v_mov_b32_e32 v207, v220
	v_mov_b32_e32 v203, v225
	;; [unrolled: 1-line block ×5, first 2 shown]
	v_mad_co_u64_u32 v[239:240], null, s16, v249, 0
	v_dual_mov_b32 v213, v224 :: v_dual_add_nc_u32 v250, 0x708, v247
	s_delay_alu instid0(VALU_DEP_3)
	v_mad_co_u64_u32 v[224:225], null, s17, v232, v[211:212]
	v_mad_co_u64_u32 v[225:226], null, s17, v233, v[207:208]
	;; [unrolled: 1-line block ×3, first 2 shown]
	v_mov_b32_e32 v209, v215
	v_mov_b32_e32 v211, v229
	v_mad_co_u64_u32 v[231:232], null, s16, v241, 0
	v_mov_b32_e32 v207, v227
	s_delay_alu instid0(VALU_DEP_4)
	v_mad_co_u64_u32 v[215:216], null, s17, v247, v[209:210]
	v_mov_b32_e32 v209, v228
	v_mad_co_u64_u32 v[226:227], null, s16, v245, 0
	v_mad_co_u64_u32 v[234:235], null, s17, v235, v[213:214]
	v_mov_b32_e32 v216, v232
	v_mad_co_u64_u32 v[235:236], null, s16, v248, 0
	v_dual_mov_b32 v222, v233 :: v_dual_add_nc_u32 v197, 0x21c, v196
	s_delay_alu instid0(VALU_DEP_3) | instskip(SKIP_1) | instid1(VALU_DEP_3)
	v_mad_co_u64_u32 v[241:242], null, s17, v241, v[216:217]
	v_mov_b32_e32 v216, v227
	v_mul_hi_u32 v246, 0x91a2b3c5, v197
	v_dual_mov_b32 v220, v225 :: v_dual_mov_b32 v225, v236
	v_mov_b32_e32 v218, v224
	v_mov_b32_e32 v224, v234
	v_mad_co_u64_u32 v[233:234], null, s17, v245, v[216:217]
	v_mov_b32_e32 v216, v240
	v_mov_b32_e32 v232, v241
	v_mad_co_u64_u32 v[240:241], null, s17, v248, v[225:226]
	v_lshrrev_b32_e32 v241, 9, v246
	v_add_nc_u32_e32 v248, 0x384, v247
	v_mad_co_u64_u32 v[246:247], null, s17, v249, v[216:217]
	v_lshlrev_b64_e32 v[200:201], 4, v[200:201]
	v_lshlrev_b64_e32 v[202:203], 4, v[202:203]
	v_mov_b32_e32 v236, v240
	v_lshlrev_b64_e32 v[204:205], 4, v[204:205]
	v_lshlrev_b64_e32 v[206:207], 4, v[206:207]
	;; [unrolled: 1-line block ×3, first 2 shown]
	v_mov_b32_e32 v240, v246
	v_add_co_u32 v200, vcc_lo, v160, v200
	s_wait_alu 0xfffd
	v_add_co_ci_u32_e32 v201, vcc_lo, v161, v201, vcc_lo
	v_lshlrev_b64_e32 v[210:211], 4, v[210:211]
	v_mov_b32_e32 v213, v230
	ds_load_b64 v[242:243], v243
	ds_load_b64 v[244:245], v244
	v_mov_b32_e32 v227, v233
	v_mad_co_u64_u32 v[233:234], null, s16, v248, 0
	v_lshlrev_b64_e32 v[212:213], 4, v[212:213]
	s_wait_loadcnt 0x13
	v_mul_f64_e32 v[228:229], v[38:39], v[130:131]
	s_wait_dscnt 0x8
	v_mul_f64_e32 v[130:131], v[158:159], v[130:131]
	s_wait_loadcnt 0x12
	v_mul_f64_e32 v[237:238], v[36:37], v[150:151]
	v_mul_f64_e32 v[150:151], v[156:157], v[150:151]
	s_wait_loadcnt 0x11
	v_mul_f64_e32 v[246:247], v[34:35], v[138:139]
	v_fma_f64 v[158:159], v[128:129], v[158:159], -v[228:229]
	v_fma_f64 v[38:39], v[38:39], v[128:129], v[130:131]
	s_wait_dscnt 0x7
	v_mul_f64_e32 v[128:129], v[154:155], v[138:139]
	s_wait_loadcnt 0x10
	v_mul_f64_e32 v[130:131], v[32:33], v[134:135]
	v_mul_f64_e32 v[134:135], v[152:153], v[134:135]
	v_fma_f64 v[138:139], v[148:149], v[156:157], -v[237:238]
	v_add_co_u32 v156, vcc_lo, v160, v202
	s_wait_alu 0xfffd
	v_add_co_ci_u32_e32 v157, vcc_lo, v161, v203, vcc_lo
	v_add_co_u32 v202, vcc_lo, v160, v204
	s_wait_alu 0xfffd
	v_add_co_ci_u32_e32 v203, vcc_lo, v161, v205, vcc_lo
	;; [unrolled: 3-line block ×3, first 2 shown]
	v_fma_f64 v[36:37], v[36:37], v[148:149], v[150:151]
	v_add_co_u32 v148, vcc_lo, v160, v208
	s_wait_alu 0xfffd
	v_add_co_ci_u32_e32 v149, vcc_lo, v161, v209, vcc_lo
	v_add_co_u32 v208, vcc_lo, v160, v210
	s_wait_loadcnt 0xf
	v_mul_f64_e32 v[228:229], v[30:31], v[102:103]
	v_mul_f64_e32 v[102:103], v[146:147], v[102:103]
	s_wait_loadcnt 0xe
	v_mul_f64_e32 v[150:151], v[28:29], v[98:99]
	v_mul_f64_e32 v[98:99], v[144:145], v[98:99]
	s_wait_alu 0xfffd
	v_add_co_ci_u32_e32 v209, vcc_lo, v161, v211, vcc_lo
	s_wait_loadcnt 0xd
	v_mul_f64_e32 v[210:211], v[0:1], v[94:95]
	v_fma_f64 v[154:155], v[136:137], v[154:155], -v[246:247]
	v_mul_f64_e32 v[94:95], v[112:113], v[94:95]
	v_lshlrev_b64_e32 v[204:205], 4, v[217:218]
	v_lshlrev_b64_e32 v[216:217], 4, v[219:220]
	;; [unrolled: 1-line block ×6, first 2 shown]
	v_fma_f64 v[34:35], v[34:35], v[136:137], v[128:129]
	s_wait_loadcnt 0xc
	v_mul_f64_e32 v[128:129], v[12:13], v[90:91]
	v_mul_f64_e32 v[90:91], v[116:117], v[90:91]
	s_wait_loadcnt 0xb
	v_mul_f64_e32 v[136:137], v[26:27], v[82:83]
	v_fma_f64 v[32:33], v[32:33], v[132:133], v[134:135]
	v_mul_f64_e32 v[82:83], v[142:143], v[82:83]
	s_wait_loadcnt 0xa
	v_mul_f64_e32 v[134:135], v[24:25], v[86:87]
	v_mul_f64_e32 v[86:87], v[140:141], v[86:87]
	v_fma_f64 v[130:131], v[132:133], v[152:153], -v[130:131]
	v_add_co_u32 v132, vcc_lo, v160, v212
	s_wait_alu 0xfffd
	v_add_co_ci_u32_e32 v133, vcc_lo, v161, v213, vcc_lo
	v_add_co_u32 v152, vcc_lo, v160, v204
	s_wait_alu 0xfffd
	v_add_co_ci_u32_e32 v153, vcc_lo, v161, v205, vcc_lo
	;; [unrolled: 3-line block ×3, first 2 shown]
	s_wait_loadcnt 0x9
	v_mul_f64_e32 v[216:217], v[18:19], v[54:55]
	v_mul_f64_e32 v[54:55], v[122:123], v[54:55]
	v_fma_f64 v[146:147], v[100:101], v[146:147], -v[228:229]
	v_fma_f64 v[30:31], v[30:31], v[100:101], v[102:103]
	s_wait_loadcnt 0x8
	v_mul_f64_e32 v[100:101], v[22:23], v[50:51]
	v_fma_f64 v[102:103], v[96:97], v[144:145], -v[150:151]
	v_mul_f64_e32 v[50:51], v[126:127], v[50:51]
	s_wait_loadcnt 0x7
	v_mul_f64_e32 v[144:145], v[16:17], v[66:67]
	v_fma_f64 v[28:29], v[28:29], v[96:97], v[98:99]
	s_wait_loadcnt 0x6
	v_mul_f64_e32 v[96:97], v[20:21], v[62:63]
	v_mul_f64_e32 v[66:67], v[120:121], v[66:67]
	;; [unrolled: 1-line block ×3, first 2 shown]
	s_wait_loadcnt 0x5
	v_mul_f64_e32 v[98:99], v[6:7], v[58:59]
	v_fma_f64 v[112:113], v[92:93], v[112:113], -v[210:211]
	v_fma_f64 v[0:1], v[0:1], v[92:93], v[94:95]
	s_wait_loadcnt 0x4
	v_mul_f64_e32 v[92:93], v[10:11], v[78:79]
	v_mul_f64_e32 v[58:59], v[110:111], v[58:59]
	;; [unrolled: 1-line block ×3, first 2 shown]
	v_fma_f64 v[94:95], v[88:89], v[116:117], -v[128:129]
	v_fma_f64 v[12:13], v[12:13], v[88:89], v[90:91]
	s_wait_loadcnt 0x3
	v_mul_f64_e32 v[88:89], v[4:5], v[42:43]
	v_fma_f64 v[90:91], v[80:81], v[142:143], -v[136:137]
	v_fma_f64 v[26:27], v[26:27], v[80:81], v[82:83]
	s_wait_loadcnt 0x2
	v_mul_f64_e32 v[80:81], v[8:9], v[46:47]
	v_mul_f64_e32 v[42:43], v[108:109], v[42:43]
	v_fma_f64 v[82:83], v[84:85], v[140:141], -v[134:135]
	v_mul_f64_e32 v[46:47], v[104:105], v[46:47]
	s_wait_loadcnt 0x1
	v_mul_f64_e32 v[116:117], v[2:3], v[74:75]
	v_fma_f64 v[24:25], v[24:25], v[84:85], v[86:87]
	s_wait_loadcnt 0x0
	v_mul_f64_e32 v[84:85], v[14:15], v[70:71]
	v_mul_f64_e32 v[74:75], v[114:115], v[74:75]
	;; [unrolled: 1-line block ×3, first 2 shown]
	v_add_co_u32 v212, vcc_lo, v160, v218
	s_wait_alu 0xfffd
	v_add_co_ci_u32_e32 v213, vcc_lo, v161, v219, vcc_lo
	v_add_co_u32 v128, vcc_lo, v160, v220
	v_fma_f64 v[86:87], v[52:53], v[122:123], -v[216:217]
	v_fma_f64 v[18:19], v[18:19], v[52:53], v[54:55]
	s_wait_alu 0xfffd
	v_add_co_ci_u32_e32 v129, vcc_lo, v161, v221, vcc_lo
	v_fma_f64 v[52:53], v[48:49], v[126:127], -v[100:101]
	v_add_co_u32 v134, vcc_lo, v160, v222
	v_fma_f64 v[48:49], v[22:23], v[48:49], v[50:51]
	v_fma_f64 v[22:23], v[64:65], v[120:121], -v[144:145]
	v_fma_f64 v[50:51], v[60:61], v[124:125], -v[96:97]
	v_fma_f64 v[16:17], v[16:17], v[64:65], v[66:67]
	v_fma_f64 v[54:55], v[20:21], v[60:61], v[62:63]
	v_fma_f64 v[20:21], v[56:57], v[110:111], -v[98:99]
	s_wait_alu 0xfffd
	v_add_co_ci_u32_e32 v135, vcc_lo, v161, v223, vcc_lo
	v_fma_f64 v[92:93], v[76:77], v[106:107], -v[92:93]
	v_fma_f64 v[6:7], v[6:7], v[56:57], v[58:59]
	v_fma_f64 v[76:77], v[10:11], v[76:77], v[78:79]
	v_add_f64_e32 v[10:11], v[112:113], v[94:95]
	v_add_co_u32 v136, vcc_lo, v160, v224
	v_fma_f64 v[58:59], v[40:41], v[108:109], -v[88:89]
	v_lshlrev_b64_e32 v[226:227], 4, v[235:236]
	s_wait_alu 0xfffd
	v_add_co_ci_u32_e32 v137, vcc_lo, v161, v225, vcc_lo
	v_mov_b32_e32 v142, v234
	v_add_f64_e64 v[78:79], v[36:37], -v[32:33]
	v_fma_f64 v[60:61], v[72:73], v[114:115], -v[116:117]
	v_add_f64_e64 v[88:89], v[138:139], -v[130:131]
	v_fma_f64 v[62:63], v[68:69], v[118:119], -v[84:85]
	v_fma_f64 v[64:65], v[2:3], v[72:73], v[74:75]
	v_fma_f64 v[66:67], v[14:15], v[68:69], v[70:71]
	v_fma_f64 v[68:69], v[44:45], v[104:105], -v[80:81]
	v_fma_f64 v[14:15], v[4:5], v[40:41], v[42:43]
	v_fma_f64 v[70:71], v[8:9], v[44:45], v[46:47]
	s_wait_dscnt 0x4
	v_add_f64_e32 v[42:43], v[192:193], v[158:159]
	v_add_f64_e32 v[44:45], v[38:39], v[34:35]
	;; [unrolled: 1-line block ×3, first 2 shown]
	s_wait_dscnt 0x3
	v_add_f64_e32 v[80:81], v[190:191], v[138:139]
	v_add_f64_e32 v[84:85], v[36:37], v[32:33]
	;; [unrolled: 1-line block ×5, first 2 shown]
	v_add_f64_e64 v[74:75], v[158:159], -v[154:155]
	v_add_f64_e32 v[36:37], v[176:177], v[36:37]
	v_add_f64_e32 v[116:117], v[86:87], v[52:53]
	v_add_f64_e64 v[118:119], v[18:19], -v[48:49]
	v_add_f64_e32 v[120:121], v[184:185], v[86:87]
	v_add_f64_e32 v[122:123], v[18:19], v[48:49]
	v_add_f64_e64 v[126:127], v[86:87], -v[52:53]
	v_add_f64_e32 v[138:139], v[166:167], v[18:19]
	v_add_f64_e64 v[40:41], v[112:113], -v[94:95]
	v_add_f64_e64 v[110:111], v[28:29], -v[24:25]
	v_add_f64_e32 v[114:115], v[28:29], v[24:25]
	v_add_f64_e32 v[234:235], v[164:165], v[6:7]
	v_add_f64_e64 v[224:225], v[6:7], -v[76:77]
	v_add_f64_e32 v[228:229], v[6:7], v[76:77]
	v_fma_f64 v[194:195], v[10:11], -0.5, v[194:195]
	v_add_f64_e32 v[28:29], v[170:171], v[28:29]
	v_add_f64_e64 v[72:73], v[38:39], -v[34:35]
	v_add_f64_e32 v[38:39], v[178:179], v[38:39]
	s_wait_dscnt 0x2
	v_add_f64_e32 v[100:101], v[198:199], v[146:147]
	v_add_f64_e32 v[104:105], v[30:31], v[26:27]
	;; [unrolled: 1-line block ×5, first 2 shown]
	v_lshlrev_b64_e32 v[150:151], 4, v[214:215]
	v_add_f64_e32 v[124:125], v[60:61], v[62:63]
	v_add_f64_e64 v[56:57], v[0:1], -v[12:13]
	v_add_f64_e32 v[86:87], v[64:65], v[66:67]
	v_add_f64_e32 v[18:19], v[58:59], v[68:69]
	v_add_f64_e32 v[0:1], v[180:181], v[0:1]
	v_add_f64_e32 v[143:144], v[14:15], v[70:71]
	v_add_f64_e32 v[6:7], v[42:43], v[154:155]
	v_fma_f64 v[154:155], v[44:45], -0.5, v[178:179]
	v_fma_f64 v[44:45], v[46:47], -0.5, v[190:191]
	v_add_f64_e32 v[10:11], v[80:81], v[130:131]
	v_fma_f64 v[80:81], v[84:85], -0.5, v[176:177]
	v_add_f64_e32 v[2:3], v[2:3], v[94:95]
	v_fma_f64 v[94:95], v[4:5], -0.5, v[180:181]
	v_add_f64_e64 v[98:99], v[30:31], -v[26:27]
	v_add_f64_e32 v[30:31], v[168:169], v[30:31]
	s_wait_dscnt 0x1
	v_add_f64_e32 v[214:215], v[242:243], v[22:23]
	v_fma_f64 v[180:181], v[8:9], -0.5, v[192:193]
	v_add_co_u32 v140, vcc_lo, v160, v226
	v_add_f64_e32 v[8:9], v[36:37], v[32:33]
	v_add_f64_e64 v[130:131], v[14:15], -v[70:71]
	v_add_f64_e32 v[84:85], v[188:189], v[58:59]
	v_add_f64_e64 v[176:177], v[58:59], -v[68:69]
	;; [unrolled: 2-line block ×3, first 2 shown]
	s_wait_dscnt 0x0
	v_add_f64_e32 v[190:191], v[244:245], v[60:61]
	v_add_f64_e32 v[64:65], v[174:175], v[64:65]
	s_wait_alu 0xfffd
	v_add_co_ci_u32_e32 v141, vcc_lo, v161, v227, vcc_lo
	v_add_f64_e64 v[158:159], v[16:17], -v[54:55]
	v_add_f64_e32 v[216:217], v[16:17], v[54:55]
	v_add_f64_e32 v[220:221], v[162:163], v[16:17]
	;; [unrolled: 1-line block ×3, first 2 shown]
	v_add_f64_e64 v[60:61], v[60:61], -v[62:63]
	v_add_f64_e32 v[16:17], v[28:29], v[24:25]
	v_add_f64_e32 v[96:97], v[146:147], v[90:91]
	v_add_f64_e64 v[106:107], v[146:147], -v[90:91]
	v_add_f64_e32 v[145:146], v[22:23], v[50:51]
	v_fma_f64 v[124:125], v[124:125], -0.5, v[244:245]
	v_add_f64_e64 v[218:219], v[22:23], -v[50:51]
	v_fma_f64 v[86:87], v[86:87], -0.5, v[174:175]
	v_fma_f64 v[174:175], v[18:19], -0.5, v[188:189]
	v_add_f64_e64 v[230:231], v[20:21], -v[92:93]
	v_fma_f64 v[143:144], v[143:144], -0.5, v[172:173]
	v_add_f64_e32 v[4:5], v[38:39], v[34:35]
	v_add_f64_e32 v[14:15], v[100:101], v[90:91]
	v_fma_f64 v[42:43], v[78:79], s[2:3], v[44:45]
	v_fma_f64 v[46:47], v[78:79], s[4:5], v[44:45]
	;; [unrolled: 1-line block ×3, first 2 shown]
	v_fma_f64 v[90:91], v[104:105], -0.5, v[168:169]
	v_fma_f64 v[28:29], v[40:41], s[4:5], v[94:95]
	v_fma_f64 v[32:33], v[40:41], s[2:3], v[94:95]
	;; [unrolled: 1-line block ×3, first 2 shown]
	v_fma_f64 v[100:101], v[108:109], -0.5, v[186:187]
	v_add_f64_e32 v[18:19], v[112:113], v[82:83]
	v_fma_f64 v[108:109], v[116:117], -0.5, v[184:185]
	v_add_f64_e32 v[22:23], v[120:121], v[52:53]
	v_fma_f64 v[112:113], v[122:123], -0.5, v[166:167]
	v_fma_f64 v[120:121], v[222:223], -0.5, v[182:183]
	;; [unrolled: 1-line block ×3, first 2 shown]
	v_add_f64_e32 v[0:1], v[0:1], v[12:13]
	v_add_f64_e32 v[12:13], v[30:31], v[26:27]
	;; [unrolled: 1-line block ×4, first 2 shown]
	v_fma_f64 v[50:51], v[72:73], s[4:5], v[180:181]
	v_fma_f64 v[48:49], v[74:75], s[2:3], v[154:155]
	;; [unrolled: 1-line block ×6, first 2 shown]
	v_add_f64_e32 v[52:53], v[58:59], v[70:71]
	v_add_f64_e32 v[58:59], v[190:191], v[62:63]
	;; [unrolled: 1-line block ×3, first 2 shown]
	s_clause 0x8
	global_store_b128 v[200:201], v[8:11], off
	global_store_b128 v[156:157], v[44:47], off
	;; [unrolled: 1-line block ×9, first 2 shown]
	v_fma_f64 v[2:3], v[130:131], s[2:3], v[174:175]
	v_fma_f64 v[0:1], v[176:177], s[4:5], v[143:144]
	;; [unrolled: 1-line block ×4, first 2 shown]
	v_add_f64_e32 v[74:75], v[226:227], v[92:93]
	v_add_f64_e32 v[72:73], v[234:235], v[76:77]
	v_add_f64_e64 v[102:103], v[102:103], -v[82:83]
	v_fma_f64 v[62:63], v[178:179], s[2:3], v[124:125]
	v_fma_f64 v[60:61], v[60:61], s[4:5], v[86:87]
	;; [unrolled: 1-line block ×10, first 2 shown]
	v_add_f64_e32 v[24:25], v[220:221], v[54:55]
	v_add_f64_e32 v[54:55], v[84:85], v[68:69]
	v_fma_f64 v[70:71], v[130:131], s[4:5], v[174:175]
	v_fma_f64 v[68:69], v[176:177], s[2:3], v[143:144]
	v_fma_f64 v[104:105], v[114:115], -0.5, v[170:171]
	v_fma_f64 v[114:115], v[145:146], -0.5, v[242:243]
	;; [unrolled: 1-line block ×3, first 2 shown]
	v_mul_u32_u24_e32 v7, 0x384, v241
	v_mad_co_u64_u32 v[4:5], null, s17, v248, v[142:143]
	v_mad_co_u64_u32 v[5:6], null, s16, v250, 0
	s_delay_alu instid0(VALU_DEP_3)
	v_sub_nc_u32_e32 v7, v197, v7
	v_lshlrev_b64_e32 v[210:211], 4, v[239:240]
	s_clause 0x4
	global_store_b128 v[208:209], v[56:59], off
	global_store_b128 v[134:135], v[64:67], off
	;; [unrolled: 1-line block ×5, first 2 shown]
	v_mad_u32_u24 v41, 0xa8c, v241, v7
	v_mov_b32_e32 v234, v4
	v_add_co_u32 v28, vcc_lo, v160, v210
	v_mov_b32_e32 v4, v6
	s_delay_alu instid0(VALU_DEP_4) | instskip(NEXT) | instid1(VALU_DEP_4)
	v_add_nc_u32_e32 v42, 0x384, v41
	v_lshlrev_b64_e32 v[6:7], 4, v[233:234]
	s_wait_alu 0xfffd
	v_add_co_ci_u32_e32 v29, vcc_lo, v161, v211, vcc_lo
	v_add_co_u32 v30, vcc_lo, v160, v150
	v_mad_co_u64_u32 v[37:38], null, s16, v42, 0
	s_wait_alu 0xfffd
	v_add_co_ci_u32_e32 v31, vcc_lo, v161, v151, vcc_lo
	v_mad_co_u64_u32 v[34:35], null, s17, v250, v[4:5]
	v_add_nc_u32_e32 v43, 0x276, v196
	v_add_co_u32 v35, vcc_lo, v160, v6
	v_mad_co_u64_u32 v[32:33], null, s16, v41, 0
	s_wait_alu 0xfffd
	v_add_co_ci_u32_e32 v36, vcc_lo, v161, v7, vcc_lo
	s_clause 0x2
	global_store_b128 v[28:29], v[0:3], off
	global_store_b128 v[30:31], v[72:75], off
	;; [unrolled: 1-line block ×3, first 2 shown]
	v_mov_b32_e32 v2, v38
	v_mul_hi_u32 v7, 0x91a2b3c5, v43
	v_fma_f64 v[96:97], v[96:97], -0.5, v[198:199]
	v_mov_b32_e32 v4, v33
	v_fma_f64 v[80:81], v[102:103], s[4:5], v[104:105]
	v_fma_f64 v[84:85], v[102:103], s[2:3], v[104:105]
	;; [unrolled: 1-line block ×6, first 2 shown]
	v_mov_b32_e32 v6, v34
	v_lshrrev_b32_e32 v7, 9, v7
	v_mad_co_u64_u32 v[39:40], null, s17, v41, v[4:5]
	v_add_nc_u32_e32 v34, 0x708, v41
	s_delay_alu instid0(VALU_DEP_4) | instskip(NEXT) | instid1(VALU_DEP_4)
	v_lshlrev_b64_e32 v[0:1], 4, v[5:6]
	v_mul_u32_u24_e32 v5, 0x384, v7
	v_mad_co_u64_u32 v[2:3], null, s17, v42, v[2:3]
	s_delay_alu instid0(VALU_DEP_4) | instskip(SKIP_1) | instid1(VALU_DEP_4)
	v_mad_co_u64_u32 v[3:4], null, s16, v34, 0
	v_mov_b32_e32 v33, v39
	v_sub_nc_u32_e32 v5, v43, v5
	v_add_nc_u32_e32 v35, 0x2d0, v196
	v_add_co_u32 v0, vcc_lo, v160, v0
	v_mov_b32_e32 v38, v2
	s_delay_alu instid0(VALU_DEP_4)
	v_mad_u32_u24 v7, 0xa8c, v7, v5
	v_lshlrev_b64_e32 v[5:6], 4, v[32:33]
	v_mov_b32_e32 v2, v4
	s_wait_alu 0xfffd
	v_add_co_ci_u32_e32 v1, vcc_lo, v161, v1, vcc_lo
	v_mad_co_u64_u32 v[28:29], null, s16, v7, 0
	v_lshlrev_b64_e32 v[30:31], 4, v[37:38]
	v_add_co_u32 v5, vcc_lo, v160, v5
	v_mad_co_u64_u32 v[32:33], null, s17, v34, v[2:3]
	v_mul_hi_u32 v36, 0x91a2b3c5, v35
	v_mov_b32_e32 v2, v29
	s_wait_alu 0xfffd
	v_add_co_ci_u32_e32 v6, vcc_lo, v161, v6, vcc_lo
	v_add_co_u32 v29, vcc_lo, v160, v30
	v_fma_f64 v[10:11], v[98:99], s[2:3], v[96:97]
	v_fma_f64 v[78:79], v[98:99], s[4:5], v[96:97]
	;; [unrolled: 1-line block ×4, first 2 shown]
	s_wait_alu 0xfffd
	v_add_co_ci_u32_e32 v30, vcc_lo, v161, v31, vcc_lo
	v_mad_co_u64_u32 v[33:34], null, s17, v7, v[2:3]
	s_clause 0x2
	global_store_b128 v[0:1], v[104:107], off
	global_store_b128 v[5:6], v[24:27], off
	;; [unrolled: 1-line block ×3, first 2 shown]
	v_lshrrev_b32_e32 v24, 9, v36
	v_dual_mov_b32 v4, v32 :: v_dual_add_nc_u32 v25, 0x384, v7
	v_add_nc_u32_e32 v26, 0x708, v7
	v_fma_f64 v[88:89], v[126:127], s[4:5], v[112:113]
	v_mov_b32_e32 v29, v33
	v_mul_u32_u24_e32 v6, 0x384, v24
	v_fma_f64 v[92:93], v[126:127], s[2:3], v[112:113]
	s_delay_alu instid0(VALU_DEP_2) | instskip(NEXT) | instid1(VALU_DEP_4)
	v_sub_nc_u32_e32 v27, v35, v6
	v_lshlrev_b64_e32 v[6:7], 4, v[28:29]
	v_add_nc_u32_e32 v29, 0x32a, v196
	v_lshlrev_b64_e32 v[0:1], 4, v[3:4]
	v_mad_co_u64_u32 v[2:3], null, s16, v25, 0
	v_mad_co_u64_u32 v[4:5], null, s16, v26, 0
	v_mad_u32_u24 v28, 0xa8c, v24, v27
	s_delay_alu instid0(VALU_DEP_4) | instskip(SKIP_2) | instid1(VALU_DEP_4)
	v_add_co_u32 v0, vcc_lo, v160, v0
	s_wait_alu 0xfffd
	v_add_co_ci_u32_e32 v1, vcc_lo, v161, v1, vcc_lo
	v_mad_co_u64_u32 v[24:25], null, s17, v25, v[3:4]
	global_store_b128 v[0:1], v[96:99], off
	v_mov_b32_e32 v3, v24
	v_mad_co_u64_u32 v[25:26], null, s17, v26, v[5:6]
	v_mad_co_u64_u32 v[26:27], null, s16, v28, 0
	v_add_co_u32 v6, vcc_lo, v160, v6
	v_mul_hi_u32 v24, 0x91a2b3c5, v29
	v_lshlrev_b64_e32 v[1:2], 4, v[2:3]
	s_wait_alu 0xfffd
	v_add_co_ci_u32_e32 v7, vcc_lo, v161, v7, vcc_lo
	v_dual_mov_b32 v5, v25 :: v_dual_mov_b32 v0, v27
	global_store_b128 v[6:7], v[20:23], off
	v_lshlrev_b64_e32 v[3:4], 4, v[4:5]
	v_mad_co_u64_u32 v[5:6], null, s17, v28, v[0:1]
	v_lshrrev_b32_e32 v6, 9, v24
	v_add_co_u32 v0, vcc_lo, v160, v1
	s_wait_alu 0xfffd
	v_add_co_ci_u32_e32 v1, vcc_lo, v161, v2, vcc_lo
	s_delay_alu instid0(VALU_DEP_3) | instskip(SKIP_2) | instid1(VALU_DEP_3)
	v_mul_u32_u24_e32 v7, 0x384, v6
	v_add_co_u32 v2, vcc_lo, v160, v3
	v_dual_mov_b32 v27, v5 :: v_dual_add_nc_u32 v20, 0x384, v28
	v_sub_nc_u32_e32 v7, v29, v7
	s_wait_alu 0xfffd
	v_add_co_ci_u32_e32 v3, vcc_lo, v161, v4, vcc_lo
	s_delay_alu instid0(VALU_DEP_3) | instskip(NEXT) | instid1(VALU_DEP_3)
	v_mad_co_u64_u32 v[4:5], null, s16, v20, 0
	v_mad_u32_u24 v24, 0xa8c, v6, v7
	s_clause 0x1
	global_store_b128 v[0:1], v[92:95], off
	global_store_b128 v[2:3], v[88:91], off
	v_lshlrev_b64_e32 v[0:1], 4, v[26:27]
	v_mad_co_u64_u32 v[6:7], null, s16, v24, 0
	v_add_nc_u32_e32 v22, 0x708, v28
	v_add_nc_u32_e32 v27, 0x384, v24
	s_delay_alu instid0(VALU_DEP_4)
	v_add_co_u32 v0, vcc_lo, v160, v0
	s_wait_alu 0xfffd
	v_add_co_ci_u32_e32 v1, vcc_lo, v161, v1, vcc_lo
	v_mad_co_u64_u32 v[2:3], null, s16, v22, 0
	v_mad_co_u64_u32 v[20:21], null, s17, v20, v[5:6]
	v_add_nc_u32_e32 v28, 0x708, v24
	global_store_b128 v[0:1], v[16:19], off
	v_mad_co_u64_u32 v[21:22], null, s17, v22, v[3:4]
	v_mov_b32_e32 v5, v20
	v_mov_b32_e32 v3, v7
	v_mad_co_u64_u32 v[22:23], null, s16, v27, 0
	s_delay_alu instid0(VALU_DEP_2) | instskip(SKIP_1) | instid1(VALU_DEP_3)
	v_mad_co_u64_u32 v[24:25], null, s17, v24, v[3:4]
	v_mad_co_u64_u32 v[25:26], null, s16, v28, 0
	v_dual_mov_b32 v0, v23 :: v_dual_mov_b32 v3, v21
	v_lshlrev_b64_e32 v[4:5], 4, v[4:5]
	s_delay_alu instid0(VALU_DEP_4) | instskip(NEXT) | instid1(VALU_DEP_3)
	v_mov_b32_e32 v7, v24
	v_mad_co_u64_u32 v[0:1], null, s17, v27, v[0:1]
	s_delay_alu instid0(VALU_DEP_4) | instskip(SKIP_4) | instid1(VALU_DEP_3)
	v_lshlrev_b64_e32 v[2:3], 4, v[2:3]
	v_mov_b32_e32 v1, v26
	v_add_co_u32 v4, vcc_lo, v160, v4
	s_wait_alu 0xfffd
	v_add_co_ci_u32_e32 v5, vcc_lo, v161, v5, vcc_lo
	v_mad_co_u64_u32 v[16:17], null, s17, v28, v[1:2]
	v_mov_b32_e32 v23, v0
	v_lshlrev_b64_e32 v[6:7], 4, v[6:7]
	v_add_co_u32 v0, vcc_lo, v160, v2
	s_wait_alu 0xfffd
	v_add_co_ci_u32_e32 v1, vcc_lo, v161, v3, vcc_lo
	v_mov_b32_e32 v26, v16
	v_lshlrev_b64_e32 v[2:3], 4, v[22:23]
	v_add_co_u32 v6, vcc_lo, v160, v6
	s_wait_alu 0xfffd
	v_add_co_ci_u32_e32 v7, vcc_lo, v161, v7, vcc_lo
	v_lshlrev_b64_e32 v[16:17], 4, v[25:26]
	s_delay_alu instid0(VALU_DEP_4) | instskip(SKIP_2) | instid1(VALU_DEP_3)
	v_add_co_u32 v2, vcc_lo, v160, v2
	s_wait_alu 0xfffd
	v_add_co_ci_u32_e32 v3, vcc_lo, v161, v3, vcc_lo
	v_add_co_u32 v16, vcc_lo, v160, v16
	s_wait_alu 0xfffd
	v_add_co_ci_u32_e32 v17, vcc_lo, v161, v17, vcc_lo
	s_clause 0x4
	global_store_b128 v[4:5], v[84:87], off
	global_store_b128 v[0:1], v[80:83], off
	;; [unrolled: 1-line block ×5, first 2 shown]
.LBB0_15:
	s_nop 0
	s_sendmsg sendmsg(MSG_DEALLOC_VGPRS)
	s_endpgm
	.section	.rodata,"a",@progbits
	.p2align	6, 0x0
	.amdhsa_kernel fft_rtc_back_len2700_factors_3_10_10_3_3_wgs_90_tpt_90_halfLds_dp_op_CI_CI_sbrr_dirReg
		.amdhsa_group_segment_fixed_size 0
		.amdhsa_private_segment_fixed_size 0
		.amdhsa_kernarg_size 104
		.amdhsa_user_sgpr_count 2
		.amdhsa_user_sgpr_dispatch_ptr 0
		.amdhsa_user_sgpr_queue_ptr 0
		.amdhsa_user_sgpr_kernarg_segment_ptr 1
		.amdhsa_user_sgpr_dispatch_id 0
		.amdhsa_user_sgpr_private_segment_size 0
		.amdhsa_wavefront_size32 1
		.amdhsa_uses_dynamic_stack 0
		.amdhsa_enable_private_segment 0
		.amdhsa_system_sgpr_workgroup_id_x 1
		.amdhsa_system_sgpr_workgroup_id_y 0
		.amdhsa_system_sgpr_workgroup_id_z 0
		.amdhsa_system_sgpr_workgroup_info 0
		.amdhsa_system_vgpr_workitem_id 0
		.amdhsa_next_free_vgpr 252
		.amdhsa_next_free_sgpr 43
		.amdhsa_reserve_vcc 1
		.amdhsa_float_round_mode_32 0
		.amdhsa_float_round_mode_16_64 0
		.amdhsa_float_denorm_mode_32 3
		.amdhsa_float_denorm_mode_16_64 3
		.amdhsa_fp16_overflow 0
		.amdhsa_workgroup_processor_mode 1
		.amdhsa_memory_ordered 1
		.amdhsa_forward_progress 0
		.amdhsa_round_robin_scheduling 0
		.amdhsa_exception_fp_ieee_invalid_op 0
		.amdhsa_exception_fp_denorm_src 0
		.amdhsa_exception_fp_ieee_div_zero 0
		.amdhsa_exception_fp_ieee_overflow 0
		.amdhsa_exception_fp_ieee_underflow 0
		.amdhsa_exception_fp_ieee_inexact 0
		.amdhsa_exception_int_div_zero 0
	.end_amdhsa_kernel
	.text
.Lfunc_end0:
	.size	fft_rtc_back_len2700_factors_3_10_10_3_3_wgs_90_tpt_90_halfLds_dp_op_CI_CI_sbrr_dirReg, .Lfunc_end0-fft_rtc_back_len2700_factors_3_10_10_3_3_wgs_90_tpt_90_halfLds_dp_op_CI_CI_sbrr_dirReg
                                        ; -- End function
	.section	.AMDGPU.csdata,"",@progbits
; Kernel info:
; codeLenInByte = 23348
; NumSgprs: 45
; NumVgprs: 252
; ScratchSize: 0
; MemoryBound: 1
; FloatMode: 240
; IeeeMode: 1
; LDSByteSize: 0 bytes/workgroup (compile time only)
; SGPRBlocks: 5
; VGPRBlocks: 31
; NumSGPRsForWavesPerEU: 45
; NumVGPRsForWavesPerEU: 252
; Occupancy: 5
; WaveLimiterHint : 1
; COMPUTE_PGM_RSRC2:SCRATCH_EN: 0
; COMPUTE_PGM_RSRC2:USER_SGPR: 2
; COMPUTE_PGM_RSRC2:TRAP_HANDLER: 0
; COMPUTE_PGM_RSRC2:TGID_X_EN: 1
; COMPUTE_PGM_RSRC2:TGID_Y_EN: 0
; COMPUTE_PGM_RSRC2:TGID_Z_EN: 0
; COMPUTE_PGM_RSRC2:TIDIG_COMP_CNT: 0
	.text
	.p2alignl 7, 3214868480
	.fill 96, 4, 3214868480
	.type	__hip_cuid_15e4a3f3756fb0b4,@object ; @__hip_cuid_15e4a3f3756fb0b4
	.section	.bss,"aw",@nobits
	.globl	__hip_cuid_15e4a3f3756fb0b4
__hip_cuid_15e4a3f3756fb0b4:
	.byte	0                               ; 0x0
	.size	__hip_cuid_15e4a3f3756fb0b4, 1

	.ident	"AMD clang version 19.0.0git (https://github.com/RadeonOpenCompute/llvm-project roc-6.4.0 25133 c7fe45cf4b819c5991fe208aaa96edf142730f1d)"
	.section	".note.GNU-stack","",@progbits
	.addrsig
	.addrsig_sym __hip_cuid_15e4a3f3756fb0b4
	.amdgpu_metadata
---
amdhsa.kernels:
  - .args:
      - .actual_access:  read_only
        .address_space:  global
        .offset:         0
        .size:           8
        .value_kind:     global_buffer
      - .offset:         8
        .size:           8
        .value_kind:     by_value
      - .actual_access:  read_only
        .address_space:  global
        .offset:         16
        .size:           8
        .value_kind:     global_buffer
      - .actual_access:  read_only
        .address_space:  global
        .offset:         24
        .size:           8
        .value_kind:     global_buffer
      - .actual_access:  read_only
        .address_space:  global
        .offset:         32
        .size:           8
        .value_kind:     global_buffer
      - .offset:         40
        .size:           8
        .value_kind:     by_value
      - .actual_access:  read_only
        .address_space:  global
        .offset:         48
        .size:           8
        .value_kind:     global_buffer
      - .actual_access:  read_only
        .address_space:  global
        .offset:         56
        .size:           8
        .value_kind:     global_buffer
      - .offset:         64
        .size:           4
        .value_kind:     by_value
      - .actual_access:  read_only
        .address_space:  global
        .offset:         72
        .size:           8
        .value_kind:     global_buffer
      - .actual_access:  read_only
        .address_space:  global
        .offset:         80
        .size:           8
        .value_kind:     global_buffer
      - .actual_access:  read_only
        .address_space:  global
        .offset:         88
        .size:           8
        .value_kind:     global_buffer
      - .actual_access:  write_only
        .address_space:  global
        .offset:         96
        .size:           8
        .value_kind:     global_buffer
    .group_segment_fixed_size: 0
    .kernarg_segment_align: 8
    .kernarg_segment_size: 104
    .language:       OpenCL C
    .language_version:
      - 2
      - 0
    .max_flat_workgroup_size: 90
    .name:           fft_rtc_back_len2700_factors_3_10_10_3_3_wgs_90_tpt_90_halfLds_dp_op_CI_CI_sbrr_dirReg
    .private_segment_fixed_size: 0
    .sgpr_count:     45
    .sgpr_spill_count: 0
    .symbol:         fft_rtc_back_len2700_factors_3_10_10_3_3_wgs_90_tpt_90_halfLds_dp_op_CI_CI_sbrr_dirReg.kd
    .uniform_work_group_size: 1
    .uses_dynamic_stack: false
    .vgpr_count:     252
    .vgpr_spill_count: 0
    .wavefront_size: 32
    .workgroup_processor_mode: 1
amdhsa.target:   amdgcn-amd-amdhsa--gfx1201
amdhsa.version:
  - 1
  - 2
...

	.end_amdgpu_metadata
